;; amdgpu-corpus repo=ROCm/rocFFT kind=compiled arch=gfx1030 opt=O3
	.text
	.amdgcn_target "amdgcn-amd-amdhsa--gfx1030"
	.amdhsa_code_object_version 6
	.protected	bluestein_single_back_len1625_dim1_dp_op_CI_CI ; -- Begin function bluestein_single_back_len1625_dim1_dp_op_CI_CI
	.globl	bluestein_single_back_len1625_dim1_dp_op_CI_CI
	.p2align	8
	.type	bluestein_single_back_len1625_dim1_dp_op_CI_CI,@function
bluestein_single_back_len1625_dim1_dp_op_CI_CI: ; @bluestein_single_back_len1625_dim1_dp_op_CI_CI
; %bb.0:
	s_load_dwordx4 s[12:15], s[4:5], 0x28
	v_mul_u32_u24_e32 v1, 0x3f1, v0
	s_mov_b64 s[50:51], s[2:3]
	s_mov_b64 s[48:49], s[0:1]
	v_mov_b32_e32 v8, 0
	s_add_u32 s48, s48, s7
	v_lshrrev_b32_e32 v4, 16, v1
	s_addc_u32 s49, s49, 0
	s_mov_b32 s0, exec_lo
	v_lshl_add_u32 v7, s6, 1, v4
	s_waitcnt lgkmcnt(0)
	v_cmpx_gt_u64_e64 s[12:13], v[7:8]
	s_cbranch_execz .LBB0_15
; %bb.1:
	s_clause 0x1
	s_load_dwordx4 s[8:11], s[4:5], 0x18
	s_load_dwordx2 s[6:7], s[4:5], 0x0
	v_mul_lo_u16 v1, 0x41, v4
	v_mov_b32_e32 v8, v7
	v_and_b32_e32 v4, 1, v4
	v_sub_nc_u16 v2, v0, v1
	v_and_b32_e32 v211, 0xffff, v2
	v_lshlrev_b32_e32 v3, 4, v211
	s_waitcnt lgkmcnt(0)
	s_load_dwordx4 s[0:3], s[8:9], 0x0
	s_clause 0x1
	global_load_dwordx4 v[77:80], v3, s[6:7]
	global_load_dwordx4 v[81:84], v3, s[6:7] offset:2000
	v_add_co_u32 v128, s8, s6, v3
	v_add_co_ci_u32_e64 v129, null, s7, 0, s8
	buffer_store_dword v8, off, s[48:51], 0 offset:108 ; 4-byte Folded Spill
	buffer_store_dword v9, off, s[48:51], 0 offset:112 ; 4-byte Folded Spill
	v_add_co_u32 v25, vcc_lo, 0x800, v128
	v_add_co_ci_u32_e32 v26, vcc_lo, 0, v129, vcc_lo
	buffer_store_dword v25, off, s[48:51], 0 offset:96 ; 4-byte Folded Spill
	buffer_store_dword v26, off, s[48:51], 0 offset:100 ; 4-byte Folded Spill
	v_add_co_u32 v17, vcc_lo, 0x1000, v128
	v_add_co_ci_u32_e32 v18, vcc_lo, 0, v129, vcc_lo
	v_add_co_u32 v23, vcc_lo, 0x1800, v128
	v_add_co_ci_u32_e32 v24, vcc_lo, 0, v129, vcc_lo
	;; [unrolled: 2-line block ×6, first 2 shown]
	s_waitcnt lgkmcnt(0)
	v_mad_u64_u32 v[0:1], null, s2, v7, 0
	v_mad_u64_u32 v[5:6], null, s0, v211, 0
	s_mul_hi_u32 s6, s0, 0x7d
	s_mul_i32 s2, s0, 0x7d
	v_mad_u64_u32 v[7:8], null, s3, v7, v[1:2]
	s_mul_i32 s3, s1, 0x7d
	s_add_i32 s3, s6, s3
	s_lshl_b64 s[6:7], s[2:3], 4
	v_mad_u64_u32 v[8:9], null, s1, v211, v[6:7]
	v_mov_b32_e32 v1, v7
	v_lshlrev_b64 v[0:1], 4, v[0:1]
	v_mov_b32_e32 v6, v8
	v_lshlrev_b64 v[5:6], 4, v[5:6]
	v_add_co_u32 v0, vcc_lo, s14, v0
	v_add_co_ci_u32_e32 v1, vcc_lo, s15, v1, vcc_lo
	v_add_co_u32 v0, vcc_lo, v0, v5
	v_add_co_ci_u32_e32 v1, vcc_lo, v1, v6, vcc_lo
	;; [unrolled: 2-line block ×5, first 2 shown]
	global_load_dwordx4 v[146:149], v[25:26], off offset:1952
	buffer_store_dword v17, off, s[48:51], 0 offset:80 ; 4-byte Folded Spill
	buffer_store_dword v18, off, s[48:51], 0 offset:84 ; 4-byte Folded Spill
	global_load_dwordx4 v[142:145], v[17:18], off offset:1904
	buffer_store_dword v23, off, s[48:51], 0 offset:72 ; 4-byte Folded Spill
	buffer_store_dword v24, off, s[48:51], 0 offset:76 ; 4-byte Folded Spill
	v_add_co_u32 v17, vcc_lo, v13, s6
	v_add_co_ci_u32_e32 v18, vcc_lo, s7, v14, vcc_lo
	global_load_dwordx4 v[138:141], v[23:24], off offset:1856
	buffer_store_dword v21, off, s[48:51], 0 offset:56 ; 4-byte Folded Spill
	buffer_store_dword v22, off, s[48:51], 0 offset:60 ; 4-byte Folded Spill
	global_load_dwordx4 v[117:120], v[21:22], off offset:1808
	buffer_store_dword v19, off, s[48:51], 0 offset:40 ; 4-byte Folded Spill
	buffer_store_dword v20, off, s[48:51], 0 offset:44 ; 4-byte Folded Spill
	v_add_co_u32 v21, vcc_lo, v17, s6
	v_add_co_ci_u32_e32 v22, vcc_lo, s7, v18, vcc_lo
	v_add_co_u32 v25, vcc_lo, v21, s6
	v_add_co_ci_u32_e32 v26, vcc_lo, s7, v22, vcc_lo
	;; [unrolled: 2-line block ×3, first 2 shown]
	global_load_dwordx4 v[113:116], v[19:20], off offset:1760
	buffer_store_dword v15, off, s[48:51], 0 offset:32 ; 4-byte Folded Spill
	buffer_store_dword v16, off, s[48:51], 0 offset:36 ; 4-byte Folded Spill
	global_load_dwordx4 v[109:112], v[15:16], off offset:1712
	buffer_store_dword v11, off, s[48:51], 0 offset:16 ; 4-byte Folded Spill
	buffer_store_dword v12, off, s[48:51], 0 offset:20 ; 4-byte Folded Spill
	;; [unrolled: 3-line block ×3, first 2 shown]
	global_load_dwordx4 v[101:104], v[5:6], off offset:1616
	s_clause 0x1
	global_load_dwordx4 v[5:8], v[0:1], off
	global_load_dwordx4 v[9:12], v[9:10], off
	v_add_co_u32 v0, vcc_lo, v29, s6
	v_add_co_ci_u32_e32 v1, vcc_lo, s7, v30, vcc_lo
	s_clause 0x1
	global_load_dwordx4 v[13:16], v[13:14], off
	global_load_dwordx4 v[17:20], v[17:18], off
	v_add_co_u32 v37, vcc_lo, v0, s6
	v_add_co_ci_u32_e32 v38, vcc_lo, s7, v1, vcc_lo
	global_load_dwordx4 v[21:24], v[21:22], off
	v_add_co_u32 v41, vcc_lo, v37, s6
	v_add_co_ci_u32_e32 v42, vcc_lo, s7, v38, vcc_lo
	;; [unrolled: 3-line block ×3, first 2 shown]
	v_add_co_u32 v51, vcc_lo, 0x4800, v128
	v_add_co_ci_u32_e32 v52, vcc_lo, 0, v129, vcc_lo
	global_load_dwordx4 v[29:32], v[29:30], off
	global_load_dwordx4 v[33:36], v[0:1], off
	;; [unrolled: 1-line block ×5, first 2 shown]
	buffer_store_dword v51, off, s[48:51], 0 offset:88 ; 4-byte Folded Spill
	buffer_store_dword v52, off, s[48:51], 0 offset:92 ; 4-byte Folded Spill
	v_add_co_u32 v49, vcc_lo, v49, s6
	v_add_co_ci_u32_e32 v50, vcc_lo, s7, v50, vcc_lo
	v_add_co_u32 v55, vcc_lo, 0x5000, v128
	v_add_co_ci_u32_e32 v56, vcc_lo, 0, v129, vcc_lo
	;; [unrolled: 2-line block ×4, first 2 shown]
	v_cmp_eq_u32_e32 vcc_lo, 1, v4
	global_load_dwordx4 v[121:124], v[51:52], off offset:1568
	global_load_dwordx4 v[49:52], v[49:50], off
	buffer_store_dword v55, off, s[48:51], 0 offset:64 ; 4-byte Folded Spill
	buffer_store_dword v56, off, s[48:51], 0 offset:68 ; 4-byte Folded Spill
	s_waitcnt vmcnt(12)
	v_mul_f64 v[57:58], v[7:8], v[79:80]
	v_cndmask_b32_e64 v4, 0, 0x659, vcc_lo
	v_mul_f64 v[59:60], v[5:6], v[79:80]
	s_waitcnt vmcnt(11)
	v_mul_f64 v[61:62], v[11:12], v[83:84]
	v_mul_f64 v[63:64], v[9:10], v[83:84]
	s_waitcnt vmcnt(10)
	v_mul_f64 v[65:66], v[15:16], v[148:149]
	v_lshlrev_b32_e32 v212, 4, v4
	v_mul_f64 v[67:68], v[13:14], v[148:149]
	s_waitcnt vmcnt(9)
	v_mul_f64 v[69:70], v[19:20], v[144:145]
	v_mul_f64 v[71:72], v[17:18], v[144:145]
	s_waitcnt vmcnt(8)
	v_mul_f64 v[73:74], v[23:24], v[140:141]
	;; [unrolled: 3-line block ×3, first 2 shown]
	v_mul_f64 v[87:88], v[41:42], v[103:104]
	v_add_nc_u32_e32 v174, v212, v3
	v_cmp_gt_u16_e32 vcc_lo, 60, v2
	v_fma_f64 v[4:5], v[5:6], v[77:78], v[57:58]
	v_mul_f64 v[57:58], v[27:28], v[119:120]
	s_waitcnt vmcnt(1)
	v_mul_f64 v[89:90], v[47:48], v[123:124]
	global_load_dwordx4 v[130:133], v[55:56], off offset:1520
	buffer_store_dword v53, off, s[48:51], 0 offset:48 ; 4-byte Folded Spill
	buffer_store_dword v54, off, s[48:51], 0 offset:52 ; 4-byte Folded Spill
	v_mul_f64 v[91:92], v[45:46], v[123:124]
	global_load_dwordx4 v[134:137], v[53:54], off offset:1472
	global_load_dwordx4 v[53:56], v[0:1], off
	buffer_store_dword v77, off, s[48:51], 0 offset:116 ; 4-byte Folded Spill
	buffer_store_dword v78, off, s[48:51], 0 offset:120 ; 4-byte Folded Spill
	;; [unrolled: 1-line block ×4, first 2 shown]
	v_mul_f64 v[79:80], v[33:34], v[111:112]
	s_waitcnt vmcnt(2)
	v_mul_f64 v[93:94], v[51:52], v[132:133]
	v_mul_f64 v[95:96], v[49:50], v[132:133]
	v_fma_f64 v[6:7], v[7:8], v[77:78], -v[59:60]
	v_fma_f64 v[8:9], v[9:10], v[81:82], v[61:62]
	buffer_store_dword v81, off, s[48:51], 0 offset:132 ; 4-byte Folded Spill
	buffer_store_dword v82, off, s[48:51], 0 offset:136 ; 4-byte Folded Spill
	;; [unrolled: 1-line block ×4, first 2 shown]
	v_mul_f64 v[59:60], v[25:26], v[119:120]
	v_mul_f64 v[61:62], v[31:32], v[115:116]
	;; [unrolled: 1-line block ×4, first 2 shown]
	s_waitcnt vmcnt(0)
	v_mul_f64 v[97:98], v[55:56], v[136:137]
	v_mul_f64 v[99:100], v[53:54], v[136:137]
	v_fma_f64 v[10:11], v[11:12], v[81:82], -v[63:64]
	v_fma_f64 v[12:13], v[13:14], v[146:147], v[65:66]
	buffer_store_dword v146, off, s[48:51], 0 offset:308 ; 4-byte Folded Spill
	buffer_store_dword v147, off, s[48:51], 0 offset:312 ; 4-byte Folded Spill
	;; [unrolled: 1-line block ×4, first 2 shown]
	v_mul_f64 v[63:64], v[29:30], v[115:116]
	v_mul_f64 v[81:82], v[39:40], v[107:108]
	v_fma_f64 v[14:15], v[15:16], v[146:147], -v[67:68]
	v_fma_f64 v[16:17], v[17:18], v[142:143], v[69:70]
	buffer_store_dword v142, off, s[48:51], 0 offset:292 ; 4-byte Folded Spill
	buffer_store_dword v143, off, s[48:51], 0 offset:296 ; 4-byte Folded Spill
	buffer_store_dword v144, off, s[48:51], 0 offset:300 ; 4-byte Folded Spill
	buffer_store_dword v145, off, s[48:51], 0 offset:304 ; 4-byte Folded Spill
	v_fma_f64 v[18:19], v[19:20], v[142:143], -v[71:72]
	v_fma_f64 v[20:21], v[21:22], v[138:139], v[73:74]
	buffer_store_dword v138, off, s[48:51], 0 offset:276 ; 4-byte Folded Spill
	buffer_store_dword v139, off, s[48:51], 0 offset:280 ; 4-byte Folded Spill
	buffer_store_dword v140, off, s[48:51], 0 offset:284 ; 4-byte Folded Spill
	buffer_store_dword v141, off, s[48:51], 0 offset:288 ; 4-byte Folded Spill
	;; [unrolled: 6-line block ×10, first 2 shown]
	s_load_dwordx2 s[2:3], s[4:5], 0x38
	s_load_dwordx4 s[8:11], s[10:11], 0x0
	ds_write_b128 v174, v[4:7]
	ds_write_b128 v174, v[8:11] offset:2000
	ds_write_b128 v174, v[12:15] offset:4000
	;; [unrolled: 1-line block ×8, first 2 shown]
	v_fma_f64 v[54:55], v[55:56], v[134:135], -v[99:100]
	ds_write_b128 v174, v[40:43] offset:18000
	ds_write_b128 v174, v[44:47] offset:20000
	;; [unrolled: 1-line block ×4, first 2 shown]
	s_and_saveexec_b32 s12, vcc_lo
	s_cbranch_execz .LBB0_3
; %bb.2:
	v_mad_u64_u32 v[16:17], null, 0xffffa650, s0, v[0:1]
	global_load_dwordx4 v[0:3], v[128:129], off offset:1040
	s_clause 0x1
	buffer_load_dword v4, off, s[48:51], 0 offset:96
	buffer_load_dword v5, off, s[48:51], 0 offset:100
	s_mulk_i32 s1, 0xa650
	s_sub_i32 s0, s1, s0
	v_add_nc_u32_e32 v17, s0, v17
	v_add_co_u32 v20, s0, v16, s6
	v_add_co_ci_u32_e64 v21, s0, s7, v17, s0
	v_add_co_u32 v24, s0, v20, s6
	v_add_co_ci_u32_e64 v25, s0, s7, v21, s0
	;; [unrolled: 2-line block ×13, first 2 shown]
	s_waitcnt vmcnt(0)
	global_load_dwordx4 v[4:7], v[4:5], off offset:992
	s_clause 0x1
	buffer_load_dword v8, off, s[48:51], 0 offset:80
	buffer_load_dword v9, off, s[48:51], 0 offset:84
	s_waitcnt vmcnt(0)
	global_load_dwordx4 v[8:11], v[8:9], off offset:944
	s_clause 0x1
	buffer_load_dword v12, off, s[48:51], 0 offset:72
	buffer_load_dword v13, off, s[48:51], 0 offset:76
	global_load_dwordx4 v[16:19], v[16:17], off
	s_waitcnt vmcnt(1)
	global_load_dwordx4 v[12:15], v[12:13], off offset:896
	global_load_dwordx4 v[20:23], v[20:21], off
	global_load_dwordx4 v[24:27], v[24:25], off
	global_load_dwordx4 v[28:31], v[28:29], off
	global_load_dwordx4 v[32:35], v[32:33], off
	global_load_dwordx4 v[36:39], v[40:41], off
	s_clause 0x1
	buffer_load_dword v40, off, s[48:51], 0 offset:56
	buffer_load_dword v41, off, s[48:51], 0 offset:60
	s_waitcnt vmcnt(8)
	v_mul_f64 v[104:105], v[18:19], v[2:3]
	v_mul_f64 v[2:3], v[16:17], v[2:3]
	s_waitcnt vmcnt(6)
	v_mul_f64 v[106:107], v[22:23], v[6:7]
	v_mul_f64 v[6:7], v[20:21], v[6:7]
	;; [unrolled: 3-line block ×3, first 2 shown]
	s_waitcnt vmcnt(4)
	v_mul_f64 v[110:111], v[30:31], v[14:15]
	s_waitcnt vmcnt(0)
	global_load_dwordx4 v[40:43], v[40:41], off offset:848
	s_clause 0x1
	buffer_load_dword v44, off, s[48:51], 0 offset:40
	buffer_load_dword v45, off, s[48:51], 0 offset:44
	global_load_dwordx4 v[48:51], v[48:49], off
	global_load_dwordx4 v[52:55], v[52:53], off
	v_mul_f64 v[112:113], v[28:29], v[14:15]
	v_fma_f64 v[14:15], v[16:17], v[0:1], v[104:105]
	v_fma_f64 v[16:17], v[18:19], v[0:1], -v[2:3]
	v_fma_f64 v[0:1], v[20:21], v[4:5], v[106:107]
	v_fma_f64 v[2:3], v[22:23], v[4:5], -v[6:7]
	v_fma_f64 v[4:5], v[24:25], v[8:9], v[108:109]
	v_fma_f64 v[6:7], v[26:27], v[8:9], -v[10:11]
	v_fma_f64 v[8:9], v[28:29], v[12:13], v[110:111]
	v_fma_f64 v[10:11], v[30:31], v[12:13], -v[112:113]
	s_waitcnt vmcnt(4)
	v_mul_f64 v[114:115], v[34:35], v[42:43]
	s_waitcnt vmcnt(2)
	global_load_dwordx4 v[44:47], v[44:45], off offset:800
	s_clause 0x1
	buffer_load_dword v56, off, s[48:51], 0 offset:32
	buffer_load_dword v57, off, s[48:51], 0 offset:36
	v_mul_f64 v[42:43], v[32:33], v[42:43]
	v_fma_f64 v[18:19], v[32:33], v[40:41], v[114:115]
	v_fma_f64 v[20:21], v[34:35], v[40:41], -v[42:43]
	s_waitcnt vmcnt(2)
	v_mul_f64 v[104:105], v[38:39], v[46:47]
	s_waitcnt vmcnt(0)
	global_load_dwordx4 v[56:59], v[56:57], off offset:752
	s_clause 0x1
	buffer_load_dword v60, off, s[48:51], 0 offset:16
	buffer_load_dword v61, off, s[48:51], 0 offset:20
	v_mul_f64 v[46:47], v[36:37], v[46:47]
	v_fma_f64 v[22:23], v[36:37], v[44:45], v[104:105]
	v_fma_f64 v[24:25], v[38:39], v[44:45], -v[46:47]
	s_waitcnt vmcnt(2)
	v_mul_f64 v[106:107], v[50:51], v[58:59]
	s_waitcnt vmcnt(0)
	global_load_dwordx4 v[60:63], v[60:61], off offset:704
	global_load_dwordx4 v[64:67], v[64:65], off
	global_load_dwordx4 v[68:71], v[68:69], off
	s_clause 0x1
	buffer_load_dword v72, off, s[48:51], 0 offset:24
	buffer_load_dword v73, off, s[48:51], 0 offset:28
	v_mul_f64 v[58:59], v[48:49], v[58:59]
	v_fma_f64 v[26:27], v[48:49], v[56:57], v[106:107]
	v_fma_f64 v[28:29], v[50:51], v[56:57], -v[58:59]
	s_waitcnt vmcnt(4)
	v_mul_f64 v[116:117], v[54:55], v[62:63]
	v_mul_f64 v[62:63], v[52:53], v[62:63]
	s_waitcnt vmcnt(0)
	global_load_dwordx4 v[72:75], v[72:73], off offset:656
	s_clause 0x1
	buffer_load_dword v76, off, s[48:51], 0 offset:88
	buffer_load_dword v77, off, s[48:51], 0 offset:92
	s_waitcnt vmcnt(0)
	global_load_dwordx4 v[76:79], v[76:77], off offset:608
	global_load_dwordx4 v[80:83], v[84:85], off
	s_clause 0x1
	buffer_load_dword v84, off, s[48:51], 0 offset:64
	buffer_load_dword v85, off, s[48:51], 0 offset:68
	v_mul_f64 v[118:119], v[66:67], v[74:75]
	v_mul_f64 v[74:75], v[64:65], v[74:75]
	v_fma_f64 v[30:31], v[52:53], v[60:61], v[116:117]
	v_fma_f64 v[32:33], v[54:55], v[60:61], -v[62:63]
	s_waitcnt vmcnt(0)
	global_load_dwordx4 v[84:87], v[84:85], off offset:560
	global_load_dwordx4 v[88:91], v[88:89], off
	s_clause 0x1
	buffer_load_dword v92, off, s[48:51], 0 offset:48
	buffer_load_dword v93, off, s[48:51], 0 offset:52
	v_mul_f64 v[120:121], v[70:71], v[78:79]
	v_mul_f64 v[78:79], v[68:69], v[78:79]
	v_fma_f64 v[34:35], v[64:65], v[72:73], v[118:119]
	v_fma_f64 v[36:37], v[66:67], v[72:73], -v[74:75]
	s_waitcnt vmcnt(0)
	s_clause 0x1
	global_load_dwordx4 v[92:95], v[92:93], off offset:512
	global_load_dwordx4 v[96:99], v[96:97], off offset:464
	global_load_dwordx4 v[100:103], v[100:101], off
	v_mul_f64 v[122:123], v[82:83], v[86:87]
	v_mul_f64 v[86:87], v[80:81], v[86:87]
	v_fma_f64 v[38:39], v[68:69], v[76:77], v[120:121]
	v_fma_f64 v[40:41], v[70:71], v[76:77], -v[78:79]
	v_fma_f64 v[42:43], v[80:81], v[84:85], v[122:123]
	v_fma_f64 v[44:45], v[82:83], v[84:85], -v[86:87]
	s_waitcnt vmcnt(2)
	v_mul_f64 v[124:125], v[90:91], v[94:95]
	v_mul_f64 v[94:95], v[88:89], v[94:95]
	s_waitcnt vmcnt(0)
	v_mul_f64 v[126:127], v[102:103], v[98:99]
	v_mul_f64 v[98:99], v[100:101], v[98:99]
	v_fma_f64 v[46:47], v[88:89], v[92:93], v[124:125]
	v_fma_f64 v[48:49], v[90:91], v[92:93], -v[94:95]
	v_fma_f64 v[50:51], v[100:101], v[96:97], v[126:127]
	v_fma_f64 v[52:53], v[102:103], v[96:97], -v[98:99]
	ds_write_b128 v174, v[14:17] offset:1040
	ds_write_b128 v174, v[0:3] offset:3040
	;; [unrolled: 1-line block ×13, first 2 shown]
.LBB0_3:
	s_or_b32 exec_lo, exec_lo, s12
	s_waitcnt lgkmcnt(0)
	s_waitcnt_vscnt null, 0x0
	s_barrier
	buffer_gl0_inv
	ds_read_b128 v[52:55], v174
	ds_read_b128 v[60:63], v174 offset:2000
	ds_read_b128 v[64:67], v174 offset:4000
	;; [unrolled: 1-line block ×12, first 2 shown]
	s_load_dwordx2 s[4:5], s[4:5], 0x8
                                        ; implicit-def: $vgpr0_vgpr1
                                        ; implicit-def: $vgpr48_vgpr49
                                        ; implicit-def: $vgpr44_vgpr45
                                        ; implicit-def: $vgpr40_vgpr41
                                        ; implicit-def: $vgpr36_vgpr37
                                        ; implicit-def: $vgpr32_vgpr33
                                        ; implicit-def: $vgpr28_vgpr29
                                        ; implicit-def: $vgpr24_vgpr25
                                        ; implicit-def: $vgpr20_vgpr21
                                        ; implicit-def: $vgpr16_vgpr17
                                        ; implicit-def: $vgpr12_vgpr13
                                        ; implicit-def: $vgpr8_vgpr9
                                        ; implicit-def: $vgpr4_vgpr5
	s_and_saveexec_b32 s0, vcc_lo
	s_cbranch_execz .LBB0_5
; %bb.4:
	ds_read_b128 v[0:3], v174 offset:1040
	ds_read_b128 v[48:51], v174 offset:3040
	;; [unrolled: 1-line block ×13, first 2 shown]
.LBB0_5:
	s_or_b32 exec_lo, exec_lo, s0
	s_waitcnt lgkmcnt(0)
	v_add_f64 v[104:105], v[52:53], v[60:61]
	v_add_f64 v[106:107], v[54:55], v[62:63]
	v_add_f64 v[108:109], v[98:99], -v[102:103]
	v_add_f64 v[110:111], v[96:97], -v[100:101]
	;; [unrolled: 1-line block ×3, first 2 shown]
	s_mov_b32 s0, 0x4267c47c
	s_mov_b32 s6, 0x42a4c3d2
	;; [unrolled: 1-line block ×12, first 2 shown]
	v_add_f64 v[62:63], v[62:63], v[58:59]
	s_mov_b32 s12, 0xe00740e9
	s_mov_b32 s16, 0x1ea71119
	;; [unrolled: 1-line block ×4, first 2 shown]
	v_add_f64 v[104:105], v[104:105], v[64:65]
	v_add_f64 v[106:107], v[106:107], v[66:67]
	s_mov_b32 s18, 0xd0032e0c
	s_mov_b32 s30, 0x93053d00
	v_mul_f64 v[114:115], v[112:113], s[6:7]
	v_mul_f64 v[116:117], v[112:113], s[22:23]
	;; [unrolled: 1-line block ×3, first 2 shown]
	s_mov_b32 s13, 0x3fec55a7
	s_mov_b32 s17, 0x3fe22d96
	;; [unrolled: 1-line block ×14, first 2 shown]
	v_mul_f64 v[177:178], v[108:109], s[20:21]
	v_add_f64 v[104:105], v[104:105], v[68:69]
	v_add_f64 v[106:107], v[106:107], v[70:71]
	s_mov_b32 s45, 0x3fcea1e5
	s_mov_b32 s44, s28
	;; [unrolled: 1-line block ×4, first 2 shown]
	v_mul_f64 v[209:210], v[108:109], s[14:15]
	v_mul_f64 v[193:194], v[108:109], s[42:43]
	v_add_f64 v[104:105], v[104:105], v[80:81]
	v_add_f64 v[106:107], v[106:107], v[82:83]
	;; [unrolled: 1-line block ×10, first 2 shown]
	v_add_f64 v[100:101], v[86:87], -v[94:95]
	v_add_f64 v[102:103], v[84:85], -v[92:93]
	v_add_f64 v[104:105], v[104:105], v[92:93]
	v_add_f64 v[106:107], v[106:107], v[94:95]
	;; [unrolled: 1-line block ×5, first 2 shown]
	v_add_f64 v[80:81], v[80:81], -v[88:89]
	v_add_f64 v[94:95], v[82:83], v[90:91]
	v_add_f64 v[82:83], v[82:83], -v[90:91]
	v_mul_f64 v[175:176], v[102:103], s[6:7]
	v_mul_f64 v[189:190], v[100:101], s[44:45]
	;; [unrolled: 1-line block ×5, first 2 shown]
	v_add_f64 v[104:105], v[104:105], v[88:89]
	v_add_f64 v[106:107], v[106:107], v[90:91]
	;; [unrolled: 1-line block ×3, first 2 shown]
	v_add_f64 v[68:69], v[68:69], -v[76:77]
	v_add_f64 v[90:91], v[70:71], v[78:79]
	v_add_f64 v[70:71], v[70:71], -v[78:79]
	v_mul_f64 v[187:188], v[80:81], s[22:23]
	v_mul_f64 v[185:186], v[82:83], s[22:23]
	;; [unrolled: 1-line block ×4, first 2 shown]
	v_add_f64 v[104:105], v[104:105], v[76:77]
	v_add_f64 v[106:107], v[106:107], v[78:79]
	;; [unrolled: 1-line block ×3, first 2 shown]
	v_add_f64 v[64:65], v[64:65], -v[72:73]
	v_add_f64 v[78:79], v[66:67], v[74:75]
	v_add_f64 v[66:67], v[66:67], -v[74:75]
	v_mul_f64 v[181:182], v[70:71], s[36:37]
	v_mul_f64 v[183:184], v[68:69], s[36:37]
	;; [unrolled: 1-line block ×4, first 2 shown]
	v_add_f64 v[72:73], v[104:105], v[72:73]
	v_add_f64 v[104:105], v[106:107], v[74:75]
	;; [unrolled: 1-line block ×3, first 2 shown]
	v_add_f64 v[60:61], v[60:61], -v[56:57]
	v_mul_f64 v[106:107], v[112:113], s[0:1]
	v_mul_f64 v[179:180], v[64:65], s[34:35]
	;; [unrolled: 1-line block ×4, first 2 shown]
	v_add_f64 v[56:57], v[72:73], v[56:57]
	v_add_f64 v[58:59], v[104:105], v[58:59]
	v_mul_f64 v[72:73], v[112:113], s[20:21]
	v_mul_f64 v[104:105], v[112:113], s[28:29]
	v_fma_f64 v[112:113], v[74:75], s[12:13], -v[106:107]
	v_fma_f64 v[106:107], v[74:75], s[12:13], v[106:107]
	v_fma_f64 v[120:121], v[74:75], s[16:17], -v[114:115]
	v_fma_f64 v[114:115], v[74:75], s[16:17], v[114:115]
	;; [unrolled: 2-line block ×4, first 2 shown]
	v_mul_f64 v[132:133], v[60:61], s[6:7]
	v_mul_f64 v[134:135], v[60:61], s[22:23]
	;; [unrolled: 1-line block ×4, first 2 shown]
	v_fma_f64 v[126:127], v[74:75], s[18:19], -v[72:73]
	v_fma_f64 v[72:73], v[74:75], s[18:19], v[72:73]
	v_fma_f64 v[130:131], v[74:75], s[30:31], -v[104:105]
	v_fma_f64 v[74:75], v[74:75], s[30:31], v[104:105]
	v_mul_f64 v[104:105], v[60:61], s[0:1]
	v_mul_f64 v[60:61], v[60:61], s[28:29]
	v_add_f64 v[106:107], v[52:53], v[106:107]
	v_add_f64 v[120:121], v[52:53], v[120:121]
	;; [unrolled: 1-line block ×4, first 2 shown]
	v_fma_f64 v[142:143], v[62:63], s[16:17], v[132:133]
	v_fma_f64 v[132:133], v[62:63], s[16:17], -v[132:133]
	v_fma_f64 v[144:145], v[62:63], s[26:27], v[134:135]
	v_fma_f64 v[134:135], v[62:63], s[26:27], -v[134:135]
	;; [unrolled: 2-line block ×4, first 2 shown]
	v_add_f64 v[116:117], v[52:53], v[116:117]
	v_add_f64 v[124:125], v[52:53], v[124:125]
	;; [unrolled: 1-line block ×6, first 2 shown]
	v_fma_f64 v[140:141], v[62:63], s[12:13], v[104:105]
	v_fma_f64 v[104:105], v[62:63], s[12:13], -v[104:105]
	v_fma_f64 v[150:151], v[62:63], s[30:31], v[60:61]
	v_fma_f64 v[60:61], v[62:63], s[30:31], -v[60:61]
	v_add_f64 v[62:63], v[52:53], v[112:113]
	v_add_f64 v[52:53], v[52:53], v[74:75]
	;; [unrolled: 1-line block ×8, first 2 shown]
	v_mul_f64 v[134:135], v[70:71], s[22:23]
	v_mul_f64 v[136:137], v[68:69], s[22:23]
	;; [unrolled: 1-line block ×6, first 2 shown]
	v_add_f64 v[112:113], v[54:55], v[140:141]
	v_add_f64 v[104:105], v[54:55], v[104:105]
	;; [unrolled: 1-line block ×6, first 2 shown]
	v_mul_f64 v[60:61], v[66:67], s[6:7]
	v_mul_f64 v[150:151], v[108:109], s[28:29]
	v_fma_f64 v[74:75], v[76:77], s[16:17], -v[60:61]
	v_fma_f64 v[60:61], v[76:77], s[16:17], v[60:61]
	v_add_f64 v[62:63], v[74:75], v[62:63]
	v_mul_f64 v[74:75], v[64:65], s[6:7]
	v_add_f64 v[60:61], v[60:61], v[106:107]
	v_mul_f64 v[106:107], v[70:71], s[28:29]
	v_fma_f64 v[130:131], v[78:79], s[16:17], v[74:75]
	v_fma_f64 v[74:75], v[78:79], s[16:17], -v[74:75]
	v_add_f64 v[112:113], v[130:131], v[112:113]
	v_fma_f64 v[130:131], v[88:89], s[26:27], -v[134:135]
	v_add_f64 v[74:75], v[74:75], v[104:105]
	v_fma_f64 v[104:105], v[88:89], s[26:27], v[134:135]
	v_add_f64 v[62:63], v[130:131], v[62:63]
	v_fma_f64 v[130:131], v[90:91], s[26:27], v[136:137]
	v_add_f64 v[60:61], v[104:105], v[60:61]
	v_fma_f64 v[104:105], v[90:91], s[26:27], -v[136:137]
	v_add_f64 v[112:113], v[130:131], v[112:113]
	v_fma_f64 v[130:131], v[86:87], s[24:25], -v[138:139]
	v_add_f64 v[74:75], v[104:105], v[74:75]
	v_fma_f64 v[104:105], v[86:87], s[24:25], v[138:139]
	v_add_f64 v[62:63], v[130:131], v[62:63]
	v_fma_f64 v[130:131], v[94:95], s[24:25], v[144:145]
	v_add_f64 v[60:61], v[104:105], v[60:61]
	v_fma_f64 v[104:105], v[94:95], s[24:25], -v[144:145]
	v_mul_f64 v[144:145], v[80:81], s[34:35]
	v_add_f64 v[112:113], v[130:131], v[112:113]
	v_fma_f64 v[130:131], v[92:93], s[18:19], -v[146:147]
	v_add_f64 v[74:75], v[104:105], v[74:75]
	v_fma_f64 v[104:105], v[92:93], s[18:19], v[146:147]
	v_mul_f64 v[146:147], v[100:101], s[38:39]
	v_add_f64 v[62:63], v[130:131], v[62:63]
	v_fma_f64 v[130:131], v[84:85], s[18:19], v[148:149]
	v_add_f64 v[60:61], v[104:105], v[60:61]
	v_fma_f64 v[104:105], v[84:85], s[18:19], -v[148:149]
	v_mul_f64 v[148:149], v[102:103], s[38:39]
	v_mul_f64 v[102:103], v[102:103], s[14:15]
	v_add_f64 v[112:113], v[130:131], v[112:113]
	v_fma_f64 v[130:131], v[96:97], s[30:31], -v[150:151]
	v_add_f64 v[74:75], v[104:105], v[74:75]
	v_fma_f64 v[104:105], v[96:97], s[30:31], v[150:151]
	v_mul_f64 v[150:151], v[108:109], s[36:37]
	v_mul_f64 v[108:109], v[108:109], s[38:39]
	v_add_f64 v[130:131], v[130:131], v[62:63]
	v_mul_f64 v[62:63], v[110:111], s[28:29]
	v_add_f64 v[134:135], v[104:105], v[60:61]
	v_mul_f64 v[60:61], v[66:67], s[14:15]
	v_fma_f64 v[132:133], v[98:99], s[30:31], v[62:63]
	v_fma_f64 v[62:63], v[98:99], s[30:31], -v[62:63]
	v_add_f64 v[132:133], v[132:133], v[112:113]
	v_add_f64 v[136:137], v[62:63], v[74:75]
	v_fma_f64 v[62:63], v[76:77], s[24:25], -v[60:61]
	v_mul_f64 v[74:75], v[64:65], s[14:15]
	v_fma_f64 v[112:113], v[88:89], s[30:31], -v[106:107]
	v_fma_f64 v[60:61], v[76:77], s[24:25], v[60:61]
	v_add_f64 v[62:63], v[62:63], v[120:121]
	v_fma_f64 v[104:105], v[78:79], s[24:25], v[74:75]
	v_fma_f64 v[74:75], v[78:79], s[24:25], -v[74:75]
	v_add_f64 v[60:61], v[60:61], v[114:115]
	v_add_f64 v[62:63], v[112:113], v[62:63]
	v_mul_f64 v[112:113], v[68:69], s[28:29]
	v_add_f64 v[104:105], v[104:105], v[140:141]
	v_add_f64 v[74:75], v[74:75], v[142:143]
	v_fma_f64 v[120:121], v[90:91], s[30:31], v[112:113]
	v_add_f64 v[104:105], v[120:121], v[104:105]
	v_mul_f64 v[120:121], v[82:83], s[34:35]
	v_fma_f64 v[138:139], v[86:87], s[18:19], -v[120:121]
	v_add_f64 v[62:63], v[138:139], v[62:63]
	v_fma_f64 v[138:139], v[94:95], s[18:19], v[144:145]
	v_add_f64 v[104:105], v[138:139], v[104:105]
	v_fma_f64 v[138:139], v[92:93], s[26:27], -v[146:147]
	v_add_f64 v[62:63], v[138:139], v[62:63]
	v_fma_f64 v[138:139], v[84:85], s[26:27], v[148:149]
	v_add_f64 v[104:105], v[138:139], v[104:105]
	v_fma_f64 v[138:139], v[96:97], s[12:13], -v[150:151]
	v_add_f64 v[138:139], v[138:139], v[62:63]
	v_mul_f64 v[62:63], v[110:111], s[36:37]
	v_fma_f64 v[140:141], v[98:99], s[12:13], v[62:63]
	v_fma_f64 v[62:63], v[98:99], s[12:13], -v[62:63]
	v_add_f64 v[140:141], v[140:141], v[104:105]
	v_fma_f64 v[104:105], v[88:89], s[30:31], v[106:107]
	v_mul_f64 v[106:107], v[70:71], s[40:41]
	v_mul_f64 v[70:71], v[70:71], s[20:21]
	v_add_f64 v[60:61], v[104:105], v[60:61]
	v_fma_f64 v[104:105], v[90:91], s[30:31], -v[112:113]
	v_fma_f64 v[112:113], v[88:89], s[24:25], -v[106:107]
	v_add_f64 v[74:75], v[104:105], v[74:75]
	v_fma_f64 v[104:105], v[86:87], s[18:19], v[120:121]
	v_add_f64 v[60:61], v[104:105], v[60:61]
	v_fma_f64 v[104:105], v[94:95], s[18:19], -v[144:145]
	v_add_f64 v[74:75], v[104:105], v[74:75]
	v_fma_f64 v[104:105], v[92:93], s[26:27], v[146:147]
	v_add_f64 v[60:61], v[104:105], v[60:61]
	;; [unrolled: 4-line block ×3, first 2 shown]
	v_add_f64 v[142:143], v[104:105], v[60:61]
	v_mul_f64 v[60:61], v[66:67], s[28:29]
	v_mul_f64 v[74:75], v[64:65], s[28:29]
	;; [unrolled: 1-line block ×3, first 2 shown]
	v_fma_f64 v[62:63], v[76:77], s[30:31], -v[60:61]
	v_fma_f64 v[104:105], v[78:79], s[30:31], v[74:75]
	v_fma_f64 v[60:61], v[76:77], s[30:31], v[60:61]
	v_add_f64 v[62:63], v[62:63], v[122:123]
	v_add_f64 v[104:105], v[104:105], v[152:153]
	v_fma_f64 v[152:153], v[88:89], s[12:13], -v[181:182]
	v_add_f64 v[60:61], v[60:61], v[116:117]
	v_add_f64 v[62:63], v[112:113], v[62:63]
	v_mul_f64 v[112:113], v[68:69], s[40:41]
	v_mul_f64 v[68:69], v[68:69], s[20:21]
	v_fma_f64 v[114:115], v[90:91], s[24:25], v[112:113]
	v_add_f64 v[104:105], v[114:115], v[104:105]
	v_mul_f64 v[114:115], v[82:83], s[36:37]
	v_mul_f64 v[82:83], v[82:83], s[42:43]
	v_fma_f64 v[120:121], v[86:87], s[12:13], -v[114:115]
	v_add_f64 v[62:63], v[120:121], v[62:63]
	v_mul_f64 v[120:121], v[80:81], s[36:37]
	v_mul_f64 v[80:81], v[80:81], s[42:43]
	v_fma_f64 v[122:123], v[94:95], s[12:13], v[120:121]
	v_add_f64 v[104:105], v[122:123], v[104:105]
	v_mul_f64 v[122:123], v[100:101], s[6:7]
	v_mul_f64 v[100:101], v[100:101], s[14:15]
	v_fma_f64 v[146:147], v[92:93], s[16:17], -v[122:123]
	v_add_f64 v[62:63], v[146:147], v[62:63]
	v_fma_f64 v[146:147], v[84:85], s[16:17], v[175:176]
	v_add_f64 v[104:105], v[146:147], v[104:105]
	v_fma_f64 v[146:147], v[96:97], s[18:19], -v[177:178]
	v_add_f64 v[146:147], v[146:147], v[62:63]
	v_mul_f64 v[62:63], v[110:111], s[20:21]
	v_fma_f64 v[148:149], v[98:99], s[18:19], v[62:63]
	v_fma_f64 v[62:63], v[98:99], s[18:19], -v[62:63]
	v_add_f64 v[148:149], v[148:149], v[104:105]
	v_mul_f64 v[104:105], v[66:67], s[34:35]
	v_mul_f64 v[66:67], v[66:67], s[36:37]
	v_fma_f64 v[150:151], v[76:77], s[18:19], -v[104:105]
	v_add_f64 v[124:125], v[150:151], v[124:125]
	v_fma_f64 v[150:151], v[78:79], s[18:19], v[179:180]
	v_add_f64 v[124:125], v[152:153], v[124:125]
	v_add_f64 v[150:151], v[150:151], v[154:155]
	v_fma_f64 v[152:153], v[90:91], s[12:13], v[183:184]
	v_add_f64 v[150:151], v[152:153], v[150:151]
	v_fma_f64 v[152:153], v[86:87], s[26:27], -v[185:186]
	v_add_f64 v[124:125], v[152:153], v[124:125]
	v_fma_f64 v[152:153], v[94:95], s[26:27], v[187:188]
	v_add_f64 v[150:151], v[152:153], v[150:151]
	v_fma_f64 v[152:153], v[92:93], s[30:31], -v[189:190]
	;; [unrolled: 4-line block ×3, first 2 shown]
	v_add_f64 v[150:151], v[150:151], v[124:125]
	v_mul_f64 v[124:125], v[110:111], s[42:43]
	v_fma_f64 v[154:155], v[98:99], s[16:17], v[124:125]
	v_add_f64 v[152:153], v[154:155], v[152:153]
	v_fma_f64 v[154:155], v[76:77], s[26:27], -v[168:169]
	v_add_f64 v[126:127], v[154:155], v[126:127]
	v_fma_f64 v[154:155], v[78:79], s[26:27], v[195:196]
	v_add_f64 v[154:155], v[154:155], v[156:157]
	v_fma_f64 v[156:157], v[88:89], s[16:17], -v[197:198]
	v_add_f64 v[126:127], v[156:157], v[126:127]
	;; [unrolled: 4-line block ×5, first 2 shown]
	v_mul_f64 v[126:127], v[110:111], s[14:15]
	v_mul_f64 v[110:111], v[110:111], s[38:39]
	v_fma_f64 v[162:163], v[98:99], s[24:25], v[126:127]
	v_add_f64 v[156:157], v[162:163], v[156:157]
	v_fma_f64 v[162:163], v[76:77], s[12:13], -v[66:67]
	v_fma_f64 v[66:67], v[76:77], s[12:13], v[66:67]
	v_add_f64 v[158:159], v[162:163], v[158:159]
	v_fma_f64 v[162:163], v[78:79], s[12:13], v[64:65]
	v_fma_f64 v[64:65], v[78:79], s[12:13], -v[64:65]
	v_add_f64 v[52:53], v[66:67], v[52:53]
	v_fma_f64 v[66:67], v[98:99], s[26:27], -v[110:111]
	v_add_f64 v[160:161], v[162:163], v[160:161]
	;; [unrolled: 2-line block ×3, first 2 shown]
	v_fma_f64 v[64:65], v[88:89], s[18:19], v[70:71]
	v_fma_f64 v[70:71], v[92:93], s[30:31], v[189:190]
	v_add_f64 v[158:159], v[162:163], v[158:159]
	v_fma_f64 v[162:163], v[90:91], s[18:19], v[68:69]
	v_add_f64 v[52:53], v[64:65], v[52:53]
	v_fma_f64 v[64:65], v[90:91], s[18:19], -v[68:69]
	v_fma_f64 v[68:69], v[90:91], s[24:25], -v[112:113]
	v_add_f64 v[160:161], v[162:163], v[160:161]
	v_fma_f64 v[162:163], v[86:87], s[16:17], -v[82:83]
	v_add_f64 v[54:55], v[64:65], v[54:55]
	v_fma_f64 v[64:65], v[86:87], s[16:17], v[82:83]
	v_add_f64 v[82:83], v[34:35], v[22:23]
	v_add_f64 v[158:159], v[162:163], v[158:159]
	v_fma_f64 v[162:163], v[94:95], s[16:17], v[80:81]
	v_add_f64 v[52:53], v[64:65], v[52:53]
	v_fma_f64 v[64:65], v[94:95], s[16:17], -v[80:81]
	v_add_f64 v[80:81], v[44:45], -v[8:9]
	v_add_f64 v[160:161], v[162:163], v[160:161]
	v_fma_f64 v[162:163], v[92:93], s[24:25], -v[100:101]
	v_add_f64 v[54:55], v[64:65], v[54:55]
	v_fma_f64 v[64:65], v[92:93], s[24:25], v[100:101]
	v_mul_f64 v[100:101], v[80:81], s[6:7]
	v_add_f64 v[158:159], v[162:163], v[158:159]
	v_fma_f64 v[162:163], v[84:85], s[24:25], v[102:103]
	v_add_f64 v[52:53], v[64:65], v[52:53]
	v_fma_f64 v[64:65], v[84:85], s[24:25], -v[102:103]
	v_add_f64 v[160:161], v[162:163], v[160:161]
	v_fma_f64 v[162:163], v[96:97], s[26:27], -v[108:109]
	v_add_f64 v[54:55], v[64:65], v[54:55]
	v_fma_f64 v[64:65], v[96:97], s[26:27], v[108:109]
	v_add_f64 v[158:159], v[162:163], v[158:159]
	v_fma_f64 v[162:163], v[98:99], s[26:27], v[110:111]
	v_add_f64 v[164:165], v[66:67], v[54:55]
	v_fma_f64 v[54:55], v[78:79], s[26:27], -v[195:196]
	v_fma_f64 v[66:67], v[98:99], s[24:25], -v[126:127]
	v_add_f64 v[126:127], v[50:51], v[6:7]
	v_add_f64 v[160:161], v[162:163], v[160:161]
	;; [unrolled: 1-line block ×3, first 2 shown]
	v_fma_f64 v[52:53], v[76:77], s[26:27], v[168:169]
	v_fma_f64 v[64:65], v[88:89], s[16:17], v[197:198]
	v_add_f64 v[54:55], v[54:55], v[166:167]
	v_add_f64 v[52:53], v[52:53], v[72:73]
	v_fma_f64 v[72:73], v[84:85], s[16:17], -v[175:176]
	v_mul_lo_u16 v175, v211, 13
	v_and_b32_e32 v175, 0xffff, v175
	v_lshl_add_u32 v175, v175, 4, v212
	v_add_f64 v[52:53], v[64:65], v[52:53]
	v_fma_f64 v[64:65], v[90:91], s[16:17], -v[199:200]
	v_add_f64 v[54:55], v[64:65], v[54:55]
	v_fma_f64 v[64:65], v[86:87], s[30:31], v[201:202]
	v_add_f64 v[52:53], v[64:65], v[52:53]
	v_fma_f64 v[64:65], v[94:95], s[30:31], -v[203:204]
	v_add_f64 v[54:55], v[64:65], v[54:55]
	v_fma_f64 v[64:65], v[92:93], s[12:13], v[205:206]
	;; [unrolled: 4-line block ×3, first 2 shown]
	v_add_f64 v[168:169], v[66:67], v[54:55]
	v_add_f64 v[166:167], v[64:65], v[52:53]
	v_fma_f64 v[52:53], v[76:77], s[18:19], v[104:105]
	v_fma_f64 v[54:55], v[78:79], s[18:19], -v[179:180]
	v_fma_f64 v[64:65], v[88:89], s[12:13], v[181:182]
	v_fma_f64 v[66:67], v[94:95], s[26:27], -v[187:188]
	v_add_f64 v[76:77], v[34:35], -v[22:23]
	v_add_f64 v[52:53], v[52:53], v[118:119]
	v_add_f64 v[54:55], v[54:55], v[172:173]
	v_mul_f64 v[104:105], v[76:77], s[20:21]
	v_add_f64 v[52:53], v[64:65], v[52:53]
	v_fma_f64 v[64:65], v[90:91], s[12:13], -v[183:184]
	v_add_f64 v[90:91], v[42:43], v[14:15]
	v_add_f64 v[54:55], v[64:65], v[54:55]
	v_fma_f64 v[64:65], v[86:87], s[26:27], v[185:186]
	v_add_f64 v[54:55], v[66:67], v[54:55]
	v_add_f64 v[52:53], v[64:65], v[52:53]
	v_fma_f64 v[64:65], v[78:79], s[30:31], -v[74:75]
	v_fma_f64 v[66:67], v[88:89], s[24:25], v[106:107]
	v_add_f64 v[106:107], v[48:49], v[4:5]
	v_add_f64 v[88:89], v[42:43], -v[14:15]
	v_add_f64 v[74:75], v[40:41], v[12:13]
	v_add_f64 v[78:79], v[40:41], -v[12:13]
	v_add_f64 v[52:53], v[70:71], v[52:53]
	v_add_f64 v[64:65], v[64:65], v[170:171]
	v_fma_f64 v[70:71], v[84:85], s[30:31], -v[191:192]
	v_add_f64 v[60:61], v[66:67], v[60:61]
	v_fma_f64 v[66:67], v[86:87], s[12:13], v[114:115]
	v_add_f64 v[84:85], v[38:39], -v[18:19]
	v_mul_f64 v[108:109], v[78:79], s[22:23]
	v_add_f64 v[86:87], v[38:39], v[18:19]
	v_add_f64 v[64:65], v[68:69], v[64:65]
	v_fma_f64 v[68:69], v[94:95], s[12:13], -v[120:121]
	v_add_f64 v[54:55], v[70:71], v[54:55]
	v_fma_f64 v[70:71], v[98:99], s[16:17], -v[124:125]
	v_add_f64 v[124:125], v[50:51], -v[6:7]
	v_add_f64 v[60:61], v[66:67], v[60:61]
	v_fma_f64 v[66:67], v[92:93], s[16:17], v[122:123]
	v_add_f64 v[92:93], v[46:47], -v[10:11]
	v_add_f64 v[120:121], v[48:49], -v[4:5]
	v_add_f64 v[94:95], v[46:47], v[10:11]
	v_mul_f64 v[98:99], v[88:89], s[22:23]
	v_mul_f64 v[102:103], v[84:85], s[14:15]
	v_add_f64 v[64:65], v[68:69], v[64:65]
	v_fma_f64 v[68:69], v[96:97], s[16:17], v[193:194]
	v_add_f64 v[172:173], v[70:71], v[54:55]
	v_mul_f64 v[114:115], v[124:125], s[0:1]
	v_add_f64 v[70:71], v[44:45], v[8:9]
	v_mul_f64 v[122:123], v[120:121], s[0:1]
	v_add_f64 v[54:55], v[72:73], v[64:65]
	v_add_f64 v[170:171], v[68:69], v[52:53]
	;; [unrolled: 1-line block ×3, first 2 shown]
	v_fma_f64 v[60:61], v[96:97], s[18:19], v[177:178]
	v_fma_f64 v[64:65], v[106:107], s[12:13], v[114:115]
	v_mul_f64 v[96:97], v[92:93], s[6:7]
	v_add_f64 v[66:67], v[36:37], -v[16:17]
	v_add_f64 v[68:69], v[30:31], -v[26:27]
	v_add_f64 v[178:179], v[62:63], v[54:55]
	v_add_f64 v[176:177], v[60:61], v[52:53]
	;; [unrolled: 1-line block ×3, first 2 shown]
	v_fma_f64 v[54:55], v[70:71], s[16:17], v[96:97]
	v_fma_f64 v[60:61], v[94:95], s[16:17], -v[100:101]
	v_add_f64 v[64:65], v[36:37], v[16:17]
	v_mul_f64 v[112:113], v[66:67], s[14:15]
	v_mul_f64 v[110:111], v[68:69], s[28:29]
	v_add_f64 v[52:53], v[54:55], v[52:53]
	v_fma_f64 v[54:55], v[126:127], s[12:13], -v[122:123]
	v_add_f64 v[54:55], v[2:3], v[54:55]
	v_add_f64 v[54:55], v[60:61], v[54:55]
	v_fma_f64 v[60:61], v[74:75], s[26:27], v[98:99]
	v_add_f64 v[52:53], v[60:61], v[52:53]
	v_fma_f64 v[60:61], v[90:91], s[26:27], -v[108:109]
	v_add_f64 v[54:55], v[60:61], v[54:55]
	v_fma_f64 v[60:61], v[64:65], s[24:25], v[102:103]
	v_add_f64 v[52:53], v[60:61], v[52:53]
	v_fma_f64 v[60:61], v[86:87], s[24:25], -v[112:113]
	v_add_f64 v[54:55], v[60:61], v[54:55]
	v_add_f64 v[60:61], v[32:33], v[20:21]
	v_fma_f64 v[62:63], v[60:61], s[18:19], v[104:105]
	v_add_f64 v[72:73], v[62:63], v[52:53]
	v_add_f64 v[62:63], v[32:33], -v[20:21]
	v_mul_f64 v[116:117], v[62:63], s[20:21]
	v_fma_f64 v[52:53], v[82:83], s[18:19], -v[116:117]
	v_add_f64 v[180:181], v[52:53], v[54:55]
	v_add_f64 v[52:53], v[28:29], v[24:25]
	v_fma_f64 v[54:55], v[52:53], s[30:31], v[110:111]
	v_add_f64 v[184:185], v[54:55], v[72:73]
	v_add_f64 v[54:55], v[28:29], -v[24:25]
	v_add_f64 v[72:73], v[30:31], v[26:27]
	v_mul_f64 v[118:119], v[54:55], s[28:29]
	v_fma_f64 v[182:183], v[72:73], s[30:31], -v[118:119]
	v_add_f64 v[186:187], v[182:183], v[180:181]
	buffer_store_dword v184, off, s[48:51], 0 ; 4-byte Folded Spill
	buffer_store_dword v185, off, s[48:51], 0 offset:4 ; 4-byte Folded Spill
	buffer_store_dword v186, off, s[48:51], 0 offset:8 ; 4-byte Folded Spill
	buffer_store_dword v187, off, s[48:51], 0 offset:12 ; 4-byte Folded Spill
	s_waitcnt_vscnt null, 0x0
	s_barrier
	buffer_gl0_inv
	ds_write_b128 v175, v[56:59]
	ds_write_b128 v175, v[130:133] offset:16
	ds_write_b128 v175, v[138:141] offset:32
	ds_write_b128 v175, v[146:149] offset:48
	ds_write_b128 v175, v[150:153] offset:64
	ds_write_b128 v175, v[154:157] offset:80
	ds_write_b128 v175, v[158:161] offset:96
	ds_write_b128 v175, v[162:165] offset:112
	ds_write_b128 v175, v[166:169] offset:128
	ds_write_b128 v175, v[170:173] offset:144
	ds_write_b128 v175, v[176:179] offset:160
	ds_write_b128 v175, v[142:145] offset:176
	ds_write_b128 v175, v[134:137] offset:192
	v_add_co_u32 v160, s33, 0x41, v211
	v_add_co_ci_u32_e64 v56, null, 0, 0, s33
	v_mul_u32_u24_e32 v56, 13, v160
	buffer_store_dword v56, off, s[48:51], 0 offset:888 ; 4-byte Folded Spill
	s_and_saveexec_b32 s33, vcc_lo
	s_cbranch_execz .LBB0_7
; %bb.6:
	v_add_f64 v[50:51], v[2:3], v[50:51]
	v_add_f64 v[48:49], v[0:1], v[48:49]
	;; [unrolled: 1-line block ×10, first 2 shown]
	v_mul_f64 v[38:39], v[70:71], s[16:17]
	v_mul_f64 v[36:37], v[94:95], s[16:17]
	v_add_f64 v[30:31], v[34:35], v[30:31]
	v_add_f64 v[28:29], v[32:33], v[28:29]
	v_mul_f64 v[32:33], v[124:125], s[22:23]
	v_mul_f64 v[34:35], v[124:125], s[6:7]
	v_add_f64 v[38:39], v[38:39], -v[96:97]
	v_mul_f64 v[96:97], v[82:83], s[18:19]
	v_add_f64 v[36:37], v[100:101], v[36:37]
	v_mul_f64 v[100:101], v[64:65], s[24:25]
	v_add_f64 v[26:27], v[30:31], v[26:27]
	v_add_f64 v[24:25], v[28:29], v[24:25]
	v_mul_f64 v[28:29], v[106:107], s[12:13]
	v_mul_f64 v[30:31], v[126:127], s[16:17]
	v_fma_f64 v[56:57], v[106:107], s[16:17], -v[34:35]
	v_fma_f64 v[58:59], v[106:107], s[26:27], -v[32:33]
	v_fma_f64 v[32:33], v[106:107], s[26:27], v[32:33]
	v_fma_f64 v[34:35], v[106:107], s[16:17], v[34:35]
	v_add_f64 v[96:97], v[116:117], v[96:97]
	v_add_f64 v[100:101], v[100:101], -v[102:103]
	v_mul_f64 v[102:103], v[72:73], s[30:31]
	v_add_f64 v[22:23], v[26:27], v[22:23]
	v_add_f64 v[20:21], v[24:25], v[20:21]
	v_mul_f64 v[24:25], v[126:127], s[24:25]
	v_mul_f64 v[26:27], v[124:125], s[20:21]
	v_fma_f64 v[50:51], v[120:121], s[6:7], v[30:31]
	v_add_f64 v[28:29], v[28:29], -v[114:115]
	v_fma_f64 v[30:31], v[120:121], s[42:43], v[30:31]
	v_add_f64 v[56:57], v[0:1], v[56:57]
	v_add_f64 v[58:59], v[0:1], v[58:59]
	;; [unrolled: 1-line block ×3, first 2 shown]
	v_mul_f64 v[114:115], v[52:53], s[30:31]
	v_add_f64 v[102:103], v[118:119], v[102:103]
	v_add_f64 v[18:19], v[22:23], v[18:19]
	;; [unrolled: 1-line block ×3, first 2 shown]
	v_mul_f64 v[20:21], v[126:127], s[18:19]
	v_mul_f64 v[22:23], v[124:125], s[28:29]
	v_fma_f64 v[46:47], v[120:121], s[40:41], v[24:25]
	v_fma_f64 v[48:49], v[106:107], s[18:19], v[26:27]
	v_fma_f64 v[26:27], v[106:107], s[18:19], -v[26:27]
	v_add_f64 v[50:51], v[2:3], v[50:51]
	v_add_f64 v[28:29], v[0:1], v[28:29]
	v_add_f64 v[110:111], v[114:115], -v[110:111]
	v_mul_f64 v[114:115], v[94:95], s[26:27]
	v_add_f64 v[14:15], v[18:19], v[14:15]
	v_add_f64 v[12:13], v[16:17], v[12:13]
	v_mul_f64 v[16:17], v[126:127], s[12:13]
	v_mul_f64 v[18:19], v[126:127], s[30:31]
	v_fma_f64 v[42:43], v[120:121], s[34:35], v[20:21]
	v_fma_f64 v[44:45], v[106:107], s[30:31], v[22:23]
	;; [unrolled: 1-line block ×3, first 2 shown]
	v_fma_f64 v[22:23], v[106:107], s[30:31], -v[22:23]
	v_add_f64 v[48:49], v[0:1], v[48:49]
	v_add_f64 v[26:27], v[0:1], v[26:27]
	;; [unrolled: 1-line block ×6, first 2 shown]
	v_mul_f64 v[12:13], v[124:125], s[14:15]
	v_mul_f64 v[14:15], v[126:127], s[26:27]
	v_add_f64 v[16:17], v[122:123], v[16:17]
	v_fma_f64 v[40:41], v[120:121], s[44:45], v[18:19]
	v_fma_f64 v[18:19], v[120:121], s[28:29], v[18:19]
	v_add_f64 v[44:45], v[0:1], v[44:45]
	v_add_f64 v[22:23], v[0:1], v[22:23]
	;; [unrolled: 1-line block ×6, first 2 shown]
	v_fma_f64 v[8:9], v[106:107], s[24:25], v[12:13]
	v_fma_f64 v[10:11], v[120:121], s[14:15], v[24:25]
	v_fma_f64 v[12:13], v[106:107], s[24:25], -v[12:13]
	v_fma_f64 v[24:25], v[120:121], s[38:39], v[14:15]
	v_fma_f64 v[14:15], v[120:121], s[22:23], v[14:15]
	v_mul_f64 v[106:107], v[90:91], s[26:27]
	v_add_f64 v[40:41], v[2:3], v[40:41]
	v_add_f64 v[18:19], v[2:3], v[18:19]
	;; [unrolled: 1-line block ×10, first 2 shown]
	v_mul_f64 v[30:31], v[74:75], s[26:27]
	v_mul_f64 v[34:35], v[86:87], s[24:25]
	v_add_f64 v[106:107], v[108:109], v[106:107]
	v_mul_f64 v[108:109], v[94:95], s[12:13]
	v_add_f64 v[16:17], v[36:37], v[16:17]
	v_add_f64 v[30:31], v[30:31], -v[98:99]
	v_mul_f64 v[98:99], v[60:61], s[18:19]
	v_add_f64 v[34:35], v[112:113], v[34:35]
	v_mul_f64 v[112:113], v[92:93], s[36:37]
	v_add_f64 v[16:17], v[106:107], v[16:17]
	v_add_f64 v[28:29], v[30:31], v[28:29]
	v_add_f64 v[98:99], v[98:99], -v[104:105]
	v_fma_f64 v[104:105], v[80:81], s[0:1], v[108:109]
	v_fma_f64 v[116:117], v[70:71], s[12:13], v[112:113]
	;; [unrolled: 1-line block ×3, first 2 shown]
	v_fma_f64 v[112:113], v[70:71], s[12:13], -v[112:113]
	v_add_f64 v[16:17], v[34:35], v[16:17]
	v_mul_f64 v[34:35], v[86:87], s[18:19]
	v_add_f64 v[28:29], v[100:101], v[28:29]
	v_add_f64 v[40:41], v[104:105], v[40:41]
	v_mul_f64 v[104:105], v[92:93], s[38:39]
	v_add_f64 v[44:45], v[116:117], v[44:45]
	v_fma_f64 v[116:117], v[80:81], s[22:23], v[114:115]
	v_add_f64 v[18:19], v[108:109], v[18:19]
	v_add_f64 v[22:23], v[112:113], v[22:23]
	v_mul_f64 v[112:113], v[94:95], s[24:25]
	v_fma_f64 v[114:115], v[80:81], s[38:39], v[114:115]
	v_fma_f64 v[100:101], v[66:67], s[34:35], v[34:35]
	v_add_f64 v[16:17], v[96:97], v[16:17]
	v_mul_f64 v[96:97], v[82:83], s[26:27]
	v_fma_f64 v[34:35], v[66:67], s[20:21], v[34:35]
	v_add_f64 v[28:29], v[98:99], v[28:29]
	v_fma_f64 v[108:109], v[70:71], s[26:27], v[104:105]
	v_fma_f64 v[104:105], v[70:71], s[26:27], -v[104:105]
	v_add_f64 v[42:43], v[116:117], v[42:43]
	v_mul_f64 v[116:117], v[92:93], s[14:15]
	v_fma_f64 v[36:37], v[80:81], s[14:15], v[112:113]
	v_add_f64 v[20:21], v[114:115], v[20:21]
	v_mul_f64 v[114:115], v[88:89], s[20:21]
	v_fma_f64 v[98:99], v[62:63], s[38:39], v[96:97]
	v_add_f64 v[48:49], v[108:109], v[48:49]
	v_mul_f64 v[108:109], v[94:95], s[30:31]
	v_mul_f64 v[94:95], v[94:95], s[18:19]
	v_fma_f64 v[38:39], v[70:71], s[24:25], -v[116:117]
	v_add_f64 v[26:27], v[104:105], v[26:27]
	v_add_f64 v[36:37], v[36:37], v[50:51]
	v_fma_f64 v[50:51], v[80:81], s[28:29], v[108:109]
	v_add_f64 v[38:39], v[38:39], v[56:57]
	v_mul_f64 v[56:57], v[92:93], s[28:29]
	v_mul_f64 v[92:93], v[92:93], s[34:35]
	v_add_f64 v[14:15], v[50:51], v[14:15]
	v_fma_f64 v[50:51], v[70:71], s[30:31], -v[56:57]
	v_fma_f64 v[56:57], v[70:71], s[30:31], v[56:57]
	v_add_f64 v[50:51], v[50:51], v[58:59]
	v_fma_f64 v[58:59], v[80:81], s[34:35], v[94:95]
	v_fma_f64 v[94:95], v[80:81], s[20:21], v[94:95]
	v_add_f64 v[32:33], v[56:57], v[32:33]
	v_mul_f64 v[56:57], v[72:73], s[24:25]
	v_add_f64 v[10:11], v[58:59], v[10:11]
	v_fma_f64 v[58:59], v[70:71], s[18:19], -v[92:93]
	v_add_f64 v[46:47], v[94:95], v[46:47]
	v_fma_f64 v[94:95], v[74:75], s[18:19], v[114:115]
	v_fma_f64 v[114:115], v[74:75], s[18:19], -v[114:115]
	v_fma_f64 v[92:93], v[70:71], s[18:19], v[92:93]
	v_fma_f64 v[70:71], v[70:71], s[24:25], v[116:117]
	v_add_f64 v[12:13], v[58:59], v[12:13]
	v_mul_f64 v[58:59], v[90:91], s[18:19]
	v_add_f64 v[44:45], v[94:95], v[44:45]
	v_mul_f64 v[94:95], v[88:89], s[6:7]
	v_add_f64 v[22:23], v[114:115], v[22:23]
	v_add_f64 v[8:9], v[92:93], v[8:9]
	;; [unrolled: 1-line block ×3, first 2 shown]
	v_fma_f64 v[104:105], v[78:79], s[34:35], v[58:59]
	v_fma_f64 v[58:59], v[78:79], s[20:21], v[58:59]
	;; [unrolled: 1-line block ×3, first 2 shown]
	v_fma_f64 v[94:95], v[74:75], s[16:17], -v[94:95]
	v_add_f64 v[40:41], v[104:105], v[40:41]
	v_mul_f64 v[104:105], v[90:91], s[16:17]
	v_add_f64 v[18:19], v[58:59], v[18:19]
	v_add_f64 v[48:49], v[114:115], v[48:49]
	v_mul_f64 v[114:115], v[88:89], s[28:29]
	v_add_f64 v[26:27], v[94:95], v[26:27]
	v_fma_f64 v[58:59], v[78:79], s[42:43], v[104:105]
	v_fma_f64 v[104:105], v[78:79], s[6:7], v[104:105]
	v_fma_f64 v[30:31], v[74:75], s[30:31], -v[114:115]
	v_add_f64 v[42:43], v[58:59], v[42:43]
	v_mul_f64 v[58:59], v[90:91], s[30:31]
	v_add_f64 v[20:21], v[104:105], v[20:21]
	v_add_f64 v[30:31], v[30:31], v[38:39]
	v_mul_f64 v[104:105], v[86:87], s[16:17]
	v_fma_f64 v[106:107], v[78:79], s[28:29], v[58:59]
	v_fma_f64 v[58:59], v[78:79], s[44:45], v[58:59]
	;; [unrolled: 1-line block ×4, first 2 shown]
	v_add_f64 v[36:37], v[106:107], v[36:37]
	v_mul_f64 v[106:107], v[90:91], s[24:25]
	v_mul_f64 v[90:91], v[90:91], s[12:13]
	v_add_f64 v[40:41], v[94:95], v[40:41]
	v_mul_f64 v[94:95], v[84:85], s[42:43]
	v_add_f64 v[18:19], v[104:105], v[18:19]
	;; [unrolled: 2-line block ×3, first 2 shown]
	v_fma_f64 v[38:39], v[78:79], s[40:41], v[106:107]
	v_mul_f64 v[100:101], v[84:85], s[34:35]
	v_fma_f64 v[92:93], v[66:67], s[44:45], v[104:105]
	v_add_f64 v[36:37], v[98:99], v[36:37]
	v_add_f64 v[14:15], v[38:39], v[14:15]
	v_mul_f64 v[38:39], v[88:89], s[40:41]
	v_mul_f64 v[88:89], v[88:89], s[36:37]
	;; [unrolled: 1-line block ×3, first 2 shown]
	v_add_f64 v[20:21], v[92:93], v[20:21]
	v_fma_f64 v[92:93], v[54:55], s[40:41], v[56:57]
	v_fma_f64 v[56:57], v[54:55], s[14:15], v[56:57]
	v_fma_f64 v[118:119], v[74:75], s[24:25], -v[38:39]
	v_fma_f64 v[38:39], v[74:75], s[24:25], v[38:39]
	v_add_f64 v[50:51], v[118:119], v[50:51]
	v_fma_f64 v[118:119], v[78:79], s[36:37], v[90:91]
	v_fma_f64 v[90:91], v[78:79], s[0:1], v[90:91]
	v_add_f64 v[32:33], v[38:39], v[32:33]
	v_add_f64 v[10:11], v[118:119], v[10:11]
	v_fma_f64 v[118:119], v[74:75], s[12:13], -v[88:89]
	v_fma_f64 v[88:89], v[74:75], s[12:13], v[88:89]
	v_fma_f64 v[74:75], v[74:75], s[30:31], v[114:115]
	v_add_f64 v[46:47], v[90:91], v[46:47]
	v_mul_f64 v[90:91], v[68:69], s[38:39]
	v_add_f64 v[12:13], v[118:119], v[12:13]
	v_fma_f64 v[118:119], v[64:65], s[16:17], v[94:95]
	v_fma_f64 v[94:95], v[64:65], s[16:17], -v[94:95]
	v_add_f64 v[8:9], v[88:89], v[8:9]
	v_fma_f64 v[88:89], v[80:81], s[44:45], v[108:109]
	v_fma_f64 v[80:81], v[80:81], s[40:41], v[112:113]
	v_add_f64 v[0:1], v[74:75], v[0:1]
	v_mul_f64 v[112:113], v[72:73], s[12:13]
	v_mul_f64 v[74:75], v[68:69], s[20:21]
	v_fma_f64 v[70:71], v[52:53], s[26:27], v[90:91]
	v_fma_f64 v[90:91], v[52:53], s[26:27], -v[90:91]
	v_add_f64 v[44:45], v[118:119], v[44:45]
	v_add_f64 v[22:23], v[94:95], v[22:23]
	v_fma_f64 v[94:95], v[66:67], s[28:29], v[104:105]
	v_add_f64 v[24:25], v[88:89], v[24:25]
	v_fma_f64 v[104:105], v[78:79], s[14:15], v[106:107]
	v_add_f64 v[2:3], v[80:81], v[2:3]
	v_mul_f64 v[80:81], v[82:83], s[16:17]
	v_mul_f64 v[106:107], v[76:77], s[6:7]
	;; [unrolled: 1-line block ×3, first 2 shown]
	v_add_f64 v[42:43], v[94:95], v[42:43]
	v_mul_f64 v[94:95], v[84:85], s[44:45]
	v_add_f64 v[24:25], v[104:105], v[24:25]
	v_add_f64 v[2:3], v[58:59], v[2:3]
	v_mul_f64 v[104:105], v[68:69], s[14:15]
	v_fma_f64 v[58:59], v[60:61], s[16:17], -v[106:107]
	v_fma_f64 v[78:79], v[54:55], s[22:23], v[88:89]
	v_fma_f64 v[88:89], v[54:55], s[38:39], v[88:89]
	;; [unrolled: 1-line block ×3, first 2 shown]
	v_fma_f64 v[94:95], v[64:65], s[30:31], -v[94:95]
	v_add_f64 v[2:3], v[34:35], v[2:3]
	v_add_f64 v[48:49], v[118:119], v[48:49]
	v_fma_f64 v[118:119], v[64:65], s[18:19], -v[100:101]
	v_add_f64 v[26:27], v[94:95], v[26:27]
	v_mul_f64 v[94:95], v[68:69], s[36:37]
	v_mul_f64 v[68:69], v[68:69], s[42:43]
	v_add_f64 v[30:31], v[118:119], v[30:31]
	v_mul_f64 v[118:119], v[86:87], s[12:13]
	v_mul_f64 v[86:87], v[86:87], s[26:27]
	v_fma_f64 v[120:121], v[66:67], s[36:37], v[118:119]
	v_fma_f64 v[108:109], v[66:67], s[0:1], v[118:119]
	v_fma_f64 v[118:119], v[52:53], s[12:13], -v[94:95]
	v_add_f64 v[14:15], v[120:121], v[14:15]
	v_mul_f64 v[120:121], v[84:85], s[36:37]
	v_mul_f64 v[84:85], v[84:85], s[22:23]
	v_add_f64 v[24:25], v[108:109], v[24:25]
	v_fma_f64 v[108:109], v[52:53], s[24:25], v[104:105]
	v_fma_f64 v[104:105], v[52:53], s[24:25], -v[104:105]
	v_fma_f64 v[122:123], v[64:65], s[12:13], -v[120:121]
	v_fma_f64 v[38:39], v[64:65], s[12:13], v[120:121]
	v_add_f64 v[50:51], v[122:123], v[50:51]
	v_fma_f64 v[122:123], v[66:67], s[22:23], v[86:87]
	v_fma_f64 v[86:87], v[66:67], s[38:39], v[86:87]
	;; [unrolled: 1-line block ×3, first 2 shown]
	v_add_f64 v[32:33], v[38:39], v[32:33]
	v_fma_f64 v[80:81], v[62:63], s[42:43], v[80:81]
	v_add_f64 v[34:35], v[58:59], v[50:51]
	v_add_f64 v[10:11], v[122:123], v[10:11]
	v_fma_f64 v[122:123], v[64:65], s[26:27], -v[84:85]
	v_fma_f64 v[84:85], v[64:65], s[26:27], v[84:85]
	v_fma_f64 v[64:65], v[64:65], s[18:19], v[100:101]
	v_mul_f64 v[100:101], v[72:73], s[18:19]
	v_add_f64 v[46:47], v[86:87], v[46:47]
	v_mul_f64 v[72:73], v[72:73], s[16:17]
	v_add_f64 v[66:67], v[66:67], v[14:15]
	v_fma_f64 v[14:15], v[62:63], s[22:23], v[96:97]
	v_fma_f64 v[50:51], v[60:61], s[26:27], v[98:99]
	v_add_f64 v[12:13], v[122:123], v[12:13]
	v_mul_f64 v[122:123], v[82:83], s[24:25]
	v_add_f64 v[8:9], v[84:85], v[8:9]
	v_add_f64 v[0:1], v[64:65], v[0:1]
	v_fma_f64 v[58:59], v[54:55], s[20:21], v[100:101]
	v_fma_f64 v[124:125], v[62:63], s[40:41], v[122:123]
	v_fma_f64 v[122:123], v[62:63], s[14:15], v[122:123]
	v_add_f64 v[50:51], v[50:51], v[0:1]
	v_add_f64 v[40:41], v[124:125], v[40:41]
	v_mul_f64 v[124:125], v[76:77], s[14:15]
	v_add_f64 v[18:19], v[122:123], v[18:19]
	v_fma_f64 v[122:123], v[60:61], s[24:25], -v[124:125]
	v_fma_f64 v[126:127], v[60:61], s[24:25], v[124:125]
	v_add_f64 v[22:23], v[122:123], v[22:23]
	v_mul_f64 v[122:123], v[82:83], s[12:13]
	v_add_f64 v[44:45], v[126:127], v[44:45]
	v_mul_f64 v[82:83], v[82:83], s[30:31]
	v_fma_f64 v[124:125], v[62:63], s[0:1], v[122:123]
	v_fma_f64 v[114:115], v[62:63], s[36:37], v[122:123]
	;; [unrolled: 1-line block ×6, first 2 shown]
	v_add_f64 v[0:1], v[70:71], v[44:45]
	v_add_f64 v[42:43], v[124:125], v[42:43]
	v_mul_f64 v[124:125], v[76:77], s[36:37]
	v_mul_f64 v[76:77], v[76:77], s[44:45]
	v_add_f64 v[62:63], v[86:87], v[10:11]
	v_fma_f64 v[86:87], v[52:53], s[16:17], -v[68:69]
	v_add_f64 v[96:97], v[114:115], v[20:21]
	v_add_f64 v[38:39], v[38:39], v[46:47]
	v_fma_f64 v[68:69], v[52:53], s[16:17], v[68:69]
	v_add_f64 v[10:11], v[88:89], v[18:19]
	v_add_f64 v[18:19], v[102:103], v[16:17]
	;; [unrolled: 1-line block ×3, first 2 shown]
	v_fma_f64 v[126:127], v[60:61], s[12:13], v[124:125]
	v_fma_f64 v[84:85], v[60:61], s[30:31], -v[76:77]
	v_fma_f64 v[116:117], v[60:61], s[12:13], -v[124:125]
	v_fma_f64 v[76:77], v[60:61], s[30:31], v[76:77]
	v_add_f64 v[48:49], v[126:127], v[48:49]
	v_fma_f64 v[126:127], v[60:61], s[26:27], -v[98:99]
	v_fma_f64 v[60:61], v[52:53], s[18:19], -v[74:75]
	v_add_f64 v[64:65], v[84:85], v[12:13]
	v_fma_f64 v[84:85], v[54:55], s[42:43], v[72:73]
	v_add_f64 v[98:99], v[116:117], v[26:27]
	v_add_f64 v[46:47], v[76:77], v[8:9]
	v_fma_f64 v[72:73], v[54:55], s[6:7], v[72:73]
	v_add_f64 v[76:77], v[80:81], v[24:25]
	v_add_f64 v[80:81], v[82:83], v[32:33]
	v_fma_f64 v[82:83], v[54:55], s[34:35], v[100:101]
	v_fma_f64 v[74:75], v[52:53], s[18:19], v[74:75]
	;; [unrolled: 1-line block ×3, first 2 shown]
	v_add_f64 v[100:101], v[14:15], v[2:3]
	v_fma_f64 v[52:53], v[52:53], s[12:13], v[94:95]
	v_add_f64 v[8:9], v[90:91], v[22:23]
	v_add_f64 v[22:23], v[106:107], v[36:37]
	v_add_f64 v[26:27], v[58:59], v[66:67]
	v_add_f64 v[2:3], v[78:79], v[40:41]
	v_add_f64 v[14:15], v[92:93], v[42:43]
	v_add_f64 v[12:13], v[108:109], v[48:49]
	v_add_f64 v[30:31], v[126:127], v[30:31]
	v_add_f64 v[24:25], v[60:61], v[34:35]
	v_add_f64 v[28:29], v[86:87], v[64:65]
	v_add_f64 v[34:35], v[56:57], v[96:97]
	v_add_f64 v[32:33], v[104:105], v[98:99]
	v_add_f64 v[36:37], v[68:69], v[46:47]
	v_add_f64 v[38:39], v[72:73], v[38:39]
	v_mul_u32_u24_e32 v48, 13, v160
	v_add_f64 v[42:43], v[82:83], v[76:77]
	v_add_f64 v[40:41], v[74:75], v[80:81]
	;; [unrolled: 1-line block ×4, first 2 shown]
	v_lshl_add_u32 v48, v48, 4, v212
	v_add_f64 v[20:21], v[118:119], v[30:31]
	v_add_f64 v[30:31], v[84:85], v[62:63]
	ds_write_b128 v48, v[4:7]
	ds_write_b128 v48, v[16:19] offset:16
	ds_write_b128 v48, v[20:23] offset:32
	;; [unrolled: 1-line block ×11, first 2 shown]
	s_clause 0x3
	buffer_load_dword v0, off, s[48:51], 0
	buffer_load_dword v1, off, s[48:51], 0 offset:4
	buffer_load_dword v2, off, s[48:51], 0 offset:8
	buffer_load_dword v3, off, s[48:51], 0 offset:12
	s_waitcnt vmcnt(0)
	ds_write_b128 v48, v[0:3] offset:192
.LBB0_7:
	s_or_b32 exec_lo, exec_lo, s33
	v_and_b32_e32 v84, 0xff, v211
	v_mov_b32_e32 v86, 6
	s_waitcnt lgkmcnt(0)
	s_waitcnt_vscnt null, 0x0
	s_barrier
	buffer_gl0_inv
	v_mul_lo_u16 v84, 0x4f, v84
	ds_read_b128 v[16:19], v174
	ds_read_b128 v[68:71], v174 offset:5200
	ds_read_b128 v[72:75], v174 offset:10400
	;; [unrolled: 1-line block ×24, first 2 shown]
	v_lshrrev_b16 v149, 10, v84
	v_add_co_u32 v162, null, 0x82, v211
	v_add_co_u32 v161, null, 0xc3, v211
	v_mul_lo_u16 v84, v149, 13
	v_and_b32_e32 v165, 0xff, v162
	v_add_co_u32 v176, null, 0x104, v211
	s_mov_b32 s16, 0x134454ff
	v_sub_nc_u16 v150, v211, v84
	s_mov_b32 s17, 0x3fee6f0e
	s_mov_b32 s15, 0xbfee6f0e
	;; [unrolled: 1-line block ×4, first 2 shown]
	v_lshlrev_b32_sdwa v84, v86, v150 dst_sel:DWORD dst_unused:UNUSED_PAD src0_sel:DWORD src1_sel:BYTE_0
	s_mov_b32 s7, 0x3fe2cf23
	s_mov_b32 s19, 0xbfe2cf23
	;; [unrolled: 1-line block ×4, first 2 shown]
	s_clause 0x3
	global_load_dwordx4 v[112:115], v84, s[4:5] offset:48
	global_load_dwordx4 v[116:119], v84, s[4:5] offset:32
	global_load_dwordx4 v[90:93], v84, s[4:5] offset:16
	global_load_dwordx4 v[122:125], v84, s[4:5]
	s_mov_b32 s13, 0x3fd3c6ef
	v_mov_b32_e32 v177, v211
	v_mov_b32_e32 v178, v212
	s_waitcnt vmcnt(0) lgkmcnt(23)
	v_mul_f64 v[84:85], v[70:71], v[124:125]
	v_fma_f64 v[120:121], v[68:69], v[122:123], -v[84:85]
	v_mul_f64 v[68:69], v[68:69], v[124:125]
	buffer_store_dword v122, off, s[48:51], 0 offset:372 ; 4-byte Folded Spill
	buffer_store_dword v123, off, s[48:51], 0 offset:376 ; 4-byte Folded Spill
	buffer_store_dword v124, off, s[48:51], 0 offset:380 ; 4-byte Folded Spill
	buffer_store_dword v125, off, s[48:51], 0 offset:384 ; 4-byte Folded Spill
	v_fma_f64 v[88:89], v[70:71], v[122:123], v[68:69]
	s_waitcnt lgkmcnt(22)
	v_mul_f64 v[68:69], v[74:75], v[92:93]
	v_fma_f64 v[122:123], v[72:73], v[90:91], -v[68:69]
	v_mul_f64 v[68:69], v[72:73], v[92:93]
	buffer_store_dword v90, off, s[48:51], 0 offset:356 ; 4-byte Folded Spill
	buffer_store_dword v91, off, s[48:51], 0 offset:360 ; 4-byte Folded Spill
	buffer_store_dword v92, off, s[48:51], 0 offset:364 ; 4-byte Folded Spill
	buffer_store_dword v93, off, s[48:51], 0 offset:368 ; 4-byte Folded Spill
	v_fma_f64 v[92:93], v[74:75], v[90:91], v[68:69]
	s_waitcnt lgkmcnt(21)
	;; [unrolled: 9-line block ×3, first 2 shown]
	v_mul_f64 v[68:69], v[82:83], v[114:115]
	v_fma_f64 v[132:133], v[80:81], v[112:113], -v[68:69]
	v_mul_f64 v[68:69], v[80:81], v[114:115]
	buffer_store_dword v112, off, s[48:51], 0 offset:324 ; 4-byte Folded Spill
	buffer_store_dword v113, off, s[48:51], 0 offset:328 ; 4-byte Folded Spill
	;; [unrolled: 1-line block ×4, first 2 shown]
	v_fma_f64 v[90:91], v[82:83], v[112:113], v[68:69]
	v_and_b32_e32 v68, 0xff, v160
	v_mul_lo_u16 v68, 0x4f, v68
	v_lshrrev_b16 v144, 10, v68
	v_mul_lo_u16 v68, v144, 13
	v_sub_nc_u16 v145, v160, v68
	v_lshlrev_b32_sdwa v68, v86, v145 dst_sel:DWORD dst_unused:UNUSED_PAD src0_sel:DWORD src1_sel:BYTE_0
	s_clause 0x3
	global_load_dwordx4 v[76:79], v68, s[4:5] offset:48
	global_load_dwordx4 v[80:83], v68, s[4:5] offset:32
	;; [unrolled: 1-line block ×3, first 2 shown]
	global_load_dwordx4 v[112:115], v68, s[4:5]
	s_waitcnt vmcnt(0) lgkmcnt(18)
	v_mul_f64 v[68:69], v[98:99], v[114:115]
	v_fma_f64 v[94:95], v[96:97], v[112:113], -v[68:69]
	v_mul_f64 v[68:69], v[96:97], v[114:115]
	buffer_store_dword v112, off, s[48:51], 0 offset:436 ; 4-byte Folded Spill
	buffer_store_dword v113, off, s[48:51], 0 offset:440 ; 4-byte Folded Spill
	;; [unrolled: 1-line block ×4, first 2 shown]
	v_fma_f64 v[70:71], v[98:99], v[112:113], v[68:69]
	s_waitcnt lgkmcnt(17)
	v_mul_f64 v[68:69], v[102:103], v[74:75]
	v_fma_f64 v[96:97], v[100:101], v[72:73], -v[68:69]
	v_mul_f64 v[68:69], v[100:101], v[74:75]
	buffer_store_dword v72, off, s[48:51], 0 offset:420 ; 4-byte Folded Spill
	buffer_store_dword v73, off, s[48:51], 0 offset:424 ; 4-byte Folded Spill
	;; [unrolled: 1-line block ×4, first 2 shown]
	v_fma_f64 v[74:75], v[102:103], v[72:73], v[68:69]
	s_waitcnt lgkmcnt(16)
	v_mul_f64 v[68:69], v[106:107], v[82:83]
	s_waitcnt lgkmcnt(15)
	v_mul_f64 v[72:73], v[110:111], v[78:79]
	v_fma_f64 v[98:99], v[104:105], v[80:81], -v[68:69]
	v_mul_f64 v[68:69], v[104:105], v[82:83]
	buffer_store_dword v80, off, s[48:51], 0 offset:404 ; 4-byte Folded Spill
	buffer_store_dword v81, off, s[48:51], 0 offset:408 ; 4-byte Folded Spill
	;; [unrolled: 1-line block ×4, first 2 shown]
	v_fma_f64 v[100:101], v[108:109], v[76:77], -v[72:73]
	v_mul_f64 v[72:73], v[108:109], v[78:79]
	buffer_store_dword v76, off, s[48:51], 0 offset:388 ; 4-byte Folded Spill
	buffer_store_dword v77, off, s[48:51], 0 offset:392 ; 4-byte Folded Spill
	;; [unrolled: 1-line block ×4, first 2 shown]
	v_fma_f64 v[68:69], v[106:107], v[80:81], v[68:69]
	v_fma_f64 v[72:73], v[110:111], v[76:77], v[72:73]
	v_mul_lo_u16 v76, 0x4f, v165
	v_lshrrev_b16 v146, 10, v76
	v_mul_lo_u16 v76, v146, 13
	v_sub_nc_u16 v147, v162, v76
	v_lshlrev_b32_sdwa v76, v86, v147 dst_sel:DWORD dst_unused:UNUSED_PAD src0_sel:DWORD src1_sel:BYTE_0
	s_clause 0x3
	global_load_dwordx4 v[102:105], v76, s[4:5] offset:48
	global_load_dwordx4 v[106:109], v76, s[4:5] offset:32
	;; [unrolled: 1-line block ×3, first 2 shown]
	global_load_dwordx4 v[78:81], v76, s[4:5]
	s_waitcnt vmcnt(0) lgkmcnt(13)
	v_mul_f64 v[76:77], v[66:67], v[80:81]
	v_fma_f64 v[76:77], v[64:65], v[78:79], -v[76:77]
	v_mul_f64 v[64:65], v[64:65], v[80:81]
	buffer_store_dword v78, off, s[48:51], 0 offset:500 ; 4-byte Folded Spill
	buffer_store_dword v79, off, s[48:51], 0 offset:504 ; 4-byte Folded Spill
	;; [unrolled: 1-line block ×4, first 2 shown]
	v_fma_f64 v[66:67], v[66:67], v[78:79], v[64:65]
	s_waitcnt lgkmcnt(12)
	v_mul_f64 v[64:65], v[62:63], v[112:113]
	v_fma_f64 v[80:81], v[60:61], v[110:111], -v[64:65]
	v_mul_f64 v[60:61], v[60:61], v[112:113]
	buffer_store_dword v110, off, s[48:51], 0 offset:484 ; 4-byte Folded Spill
	buffer_store_dword v111, off, s[48:51], 0 offset:488 ; 4-byte Folded Spill
	;; [unrolled: 1-line block ×4, first 2 shown]
	v_fma_f64 v[78:79], v[62:63], v[110:111], v[60:61]
	s_waitcnt lgkmcnt(11)
	v_mul_f64 v[60:61], v[58:59], v[108:109]
	v_fma_f64 v[62:63], v[56:57], v[106:107], -v[60:61]
	v_mul_f64 v[56:57], v[56:57], v[108:109]
	buffer_store_dword v106, off, s[48:51], 0 offset:468 ; 4-byte Folded Spill
	buffer_store_dword v107, off, s[48:51], 0 offset:472 ; 4-byte Folded Spill
	;; [unrolled: 1-line block ×4, first 2 shown]
	v_add_f64 v[60:61], v[68:69], -v[72:73]
	v_fma_f64 v[82:83], v[58:59], v[106:107], v[56:57]
	s_waitcnt lgkmcnt(10)
	v_mul_f64 v[56:57], v[54:55], v[104:105]
	v_fma_f64 v[58:59], v[52:53], v[102:103], -v[56:57]
	v_mul_f64 v[52:53], v[52:53], v[104:105]
	buffer_store_dword v102, off, s[48:51], 0 offset:452 ; 4-byte Folded Spill
	buffer_store_dword v103, off, s[48:51], 0 offset:456 ; 4-byte Folded Spill
	;; [unrolled: 1-line block ×4, first 2 shown]
	v_add_f64 v[56:57], v[72:73], -v[68:69]
	v_add_f64 v[64:65], v[58:59], -v[62:63]
	v_fma_f64 v[86:87], v[54:55], v[102:103], v[52:53]
	v_mov_b32_e32 v54, 0x4ec5
	v_mov_b32_e32 v55, 4
	v_mul_u32_u24_sdwa v52, v161, v54 dst_sel:DWORD dst_unused:UNUSED_PAD src0_sel:WORD_0 src1_sel:DWORD
	v_lshrrev_b32_e32 v148, 18, v52
	v_mul_lo_u16 v52, v148, 13
	v_sub_nc_u16 v151, v161, v52
	v_lshlrev_b16 v52, 2, v151
	v_lshlrev_b32_sdwa v52, v55, v52 dst_sel:DWORD dst_unused:UNUSED_PAD src0_sel:DWORD src1_sel:WORD_0
	s_clause 0x3
	global_load_dwordx4 v[124:127], v52, s[4:5] offset:48
	global_load_dwordx4 v[116:119], v52, s[4:5] offset:32
	;; [unrolled: 1-line block ×3, first 2 shown]
	global_load_dwordx4 v[102:105], v52, s[4:5]
	s_waitcnt vmcnt(0) lgkmcnt(8)
	v_mul_f64 v[52:53], v[50:51], v[104:105]
	v_fma_f64 v[106:107], v[48:49], v[102:103], -v[52:53]
	v_mul_f64 v[48:49], v[48:49], v[104:105]
	buffer_store_dword v102, off, s[48:51], 0 offset:564 ; 4-byte Folded Spill
	buffer_store_dword v103, off, s[48:51], 0 offset:568 ; 4-byte Folded Spill
	buffer_store_dword v104, off, s[48:51], 0 offset:572 ; 4-byte Folded Spill
	buffer_store_dword v105, off, s[48:51], 0 offset:576 ; 4-byte Folded Spill
	v_fma_f64 v[102:103], v[50:51], v[102:103], v[48:49]
	s_waitcnt lgkmcnt(7)
	v_mul_f64 v[48:49], v[46:47], v[114:115]
	v_fma_f64 v[110:111], v[44:45], v[112:113], -v[48:49]
	v_mul_f64 v[44:45], v[44:45], v[114:115]
	buffer_store_dword v112, off, s[48:51], 0 offset:548 ; 4-byte Folded Spill
	buffer_store_dword v113, off, s[48:51], 0 offset:552 ; 4-byte Folded Spill
	buffer_store_dword v114, off, s[48:51], 0 offset:556 ; 4-byte Folded Spill
	buffer_store_dword v115, off, s[48:51], 0 offset:560 ; 4-byte Folded Spill
	v_fma_f64 v[104:105], v[46:47], v[112:113], v[44:45]
	s_waitcnt lgkmcnt(6)
	;; [unrolled: 9-line block ×3, first 2 shown]
	v_mul_f64 v[40:41], v[38:39], v[126:127]
	v_fma_f64 v[116:117], v[36:37], v[124:125], -v[40:41]
	v_mul_f64 v[36:37], v[36:37], v[126:127]
	buffer_store_dword v124, off, s[48:51], 0 offset:516 ; 4-byte Folded Spill
	buffer_store_dword v125, off, s[48:51], 0 offset:520 ; 4-byte Folded Spill
	;; [unrolled: 1-line block ×4, first 2 shown]
	v_fma_f64 v[112:113], v[38:39], v[124:125], v[36:37]
	v_mul_u32_u24_sdwa v36, v176, v54 dst_sel:DWORD dst_unused:UNUSED_PAD src0_sel:WORD_0 src1_sel:DWORD
	v_lshrrev_b32_e32 v152, 18, v36
	v_mul_lo_u16 v36, v152, 13
	v_sub_nc_u16 v153, v176, v36
	v_lshlrev_b16 v36, 2, v153
	v_lshlrev_b32_sdwa v36, v55, v36 dst_sel:DWORD dst_unused:UNUSED_PAD src0_sel:DWORD src1_sel:WORD_0
	s_clause 0x3
	global_load_dwordx4 v[38:41], v36, s[4:5] offset:48
	global_load_dwordx4 v[42:45], v36, s[4:5] offset:32
	global_load_dwordx4 v[46:49], v36, s[4:5] offset:16
	global_load_dwordx4 v[50:53], v36, s[4:5]
	v_add_f64 v[54:55], v[70:71], -v[74:75]
	v_add_f64 v[54:55], v[54:55], v[56:57]
	v_add_f64 v[56:57], v[74:75], -v[70:71]
	v_add_f64 v[56:57], v[56:57], v[60:61]
	v_add_f64 v[60:61], v[76:77], -v[80:81]
	v_add_f64 v[64:65], v[60:61], v[64:65]
	s_waitcnt vmcnt(0) lgkmcnt(3)
	v_mul_f64 v[36:37], v[34:35], v[52:53]
	v_fma_f64 v[126:127], v[32:33], v[50:51], -v[36:37]
	v_mul_f64 v[32:33], v[32:33], v[52:53]
	buffer_store_dword v50, off, s[48:51], 0 offset:628 ; 4-byte Folded Spill
	buffer_store_dword v51, off, s[48:51], 0 offset:632 ; 4-byte Folded Spill
	;; [unrolled: 1-line block ×4, first 2 shown]
	v_add_f64 v[52:53], v[96:97], -v[98:99]
	v_fma_f64 v[118:119], v[34:35], v[50:51], v[32:33]
	s_waitcnt lgkmcnt(2)
	v_mul_f64 v[32:33], v[22:23], v[48:49]
	v_add_f64 v[34:35], v[88:89], -v[92:93]
	v_add_f64 v[50:51], v[98:99], -v[100:101]
	v_fma_f64 v[134:135], v[20:21], v[46:47], -v[32:33]
	v_mul_f64 v[20:21], v[20:21], v[48:49]
	buffer_store_dword v46, off, s[48:51], 0 offset:612 ; 4-byte Folded Spill
	buffer_store_dword v47, off, s[48:51], 0 offset:616 ; 4-byte Folded Spill
	;; [unrolled: 1-line block ×4, first 2 shown]
	v_add_f64 v[32:33], v[130:131], -v[132:133]
	v_add_f64 v[48:49], v[100:101], -v[98:99]
	v_fma_f64 v[124:125], v[22:23], v[46:47], v[20:21]
	s_waitcnt lgkmcnt(1)
	v_mul_f64 v[20:21], v[14:15], v[44:45]
	v_add_f64 v[22:23], v[132:133], -v[130:131]
	v_add_f64 v[46:47], v[74:75], -v[68:69]
	v_fma_f64 v[138:139], v[12:13], v[42:43], -v[20:21]
	v_mul_f64 v[12:13], v[12:13], v[44:45]
	buffer_store_dword v42, off, s[48:51], 0 offset:596 ; 4-byte Folded Spill
	buffer_store_dword v43, off, s[48:51], 0 offset:600 ; 4-byte Folded Spill
	buffer_store_dword v44, off, s[48:51], 0 offset:604 ; 4-byte Folded Spill
	buffer_store_dword v45, off, s[48:51], 0 offset:608 ; 4-byte Folded Spill
	v_add_f64 v[20:21], v[92:93], -v[84:85]
	v_add_f64 v[44:45], v[94:95], -v[96:97]
	v_add_f64 v[48:49], v[44:45], v[48:49]
	v_fma_f64 v[136:137], v[14:15], v[42:43], v[12:13]
	s_waitcnt lgkmcnt(0)
	v_mul_f64 v[12:13], v[10:11], v[40:41]
	v_add_f64 v[14:15], v[88:89], -v[90:91]
	v_add_f64 v[42:43], v[84:85], -v[90:91]
	v_fma_f64 v[142:143], v[8:9], v[38:39], -v[12:13]
	v_mul_f64 v[8:9], v[8:9], v[40:41]
	buffer_store_dword v38, off, s[48:51], 0 offset:580 ; 4-byte Folded Spill
	buffer_store_dword v39, off, s[48:51], 0 offset:584 ; 4-byte Folded Spill
	;; [unrolled: 1-line block ×4, first 2 shown]
	v_add_f64 v[12:13], v[120:121], -v[122:123]
	v_add_f64 v[40:41], v[90:91], -v[84:85]
	s_waitcnt_vscnt null, 0x0
	s_barrier
	buffer_gl0_inv
	v_add_f64 v[12:13], v[12:13], v[22:23]
	v_add_f64 v[22:23], v[122:123], -v[120:121]
	v_add_f64 v[34:35], v[34:35], v[40:41]
	v_add_f64 v[40:41], v[92:93], -v[88:89]
	;; [unrolled: 2-line block ×4, first 2 shown]
	v_fma_f64 v[140:141], v[10:11], v[38:39], v[8:9]
	v_add_f64 v[8:9], v[16:17], v[120:121]
	v_add_f64 v[8:9], v[8:9], v[122:123]
	;; [unrolled: 1-line block ×5, first 2 shown]
	v_fma_f64 v[10:11], v[8:9], -0.5, v[16:17]
	v_fma_f64 v[8:9], v[14:15], s[16:17], v[10:11]
	v_fma_f64 v[10:11], v[14:15], s[14:15], v[10:11]
	;; [unrolled: 1-line block ×6, first 2 shown]
	v_add_f64 v[10:11], v[120:121], v[132:133]
	v_fma_f64 v[10:11], v[10:11], -0.5, v[16:17]
	v_fma_f64 v[16:17], v[20:21], s[14:15], v[10:11]
	v_fma_f64 v[10:11], v[20:21], s[16:17], v[10:11]
	;; [unrolled: 1-line block ×6, first 2 shown]
	v_add_f64 v[10:11], v[18:19], v[88:89]
	v_add_f64 v[22:23], v[120:121], -v[132:133]
	v_add_f64 v[10:11], v[10:11], v[92:93]
	v_add_f64 v[10:11], v[10:11], v[84:85]
	;; [unrolled: 1-line block ×4, first 2 shown]
	v_add_f64 v[92:93], v[126:127], -v[134:135]
	v_fma_f64 v[14:15], v[10:11], -0.5, v[18:19]
	v_fma_f64 v[10:11], v[22:23], s[14:15], v[14:15]
	v_fma_f64 v[14:15], v[22:23], s[16:17], v[14:15]
	;; [unrolled: 1-line block ×6, first 2 shown]
	v_add_f64 v[34:35], v[88:89], v[90:91]
	v_add_f64 v[88:89], v[110:111], -v[114:115]
	v_add_f64 v[90:91], v[108:109], -v[112:113]
	v_fma_f64 v[34:35], v[34:35], -0.5, v[18:19]
	v_fma_f64 v[18:19], v[32:33], s[16:17], v[34:35]
	v_fma_f64 v[32:33], v[32:33], s[14:15], v[34:35]
	v_add_f64 v[34:35], v[96:97], v[98:99]
	v_fma_f64 v[18:19], v[22:23], s[18:19], v[18:19]
	v_fma_f64 v[22:23], v[22:23], s[6:7], v[32:33]
	v_fma_f64 v[34:35], v[34:35], -0.5, v[28:29]
	v_add_f64 v[32:33], v[28:29], v[94:95]
	v_fma_f64 v[18:19], v[40:41], s[12:13], v[18:19]
	v_fma_f64 v[22:23], v[40:41], s[12:13], v[22:23]
	;; [unrolled: 1-line block ×4, first 2 shown]
	v_add_f64 v[32:33], v[32:33], v[96:97]
	v_fma_f64 v[40:41], v[46:47], s[6:7], v[40:41]
	v_fma_f64 v[34:35], v[46:47], s[18:19], v[34:35]
	v_add_f64 v[32:33], v[32:33], v[98:99]
	v_add_f64 v[98:99], v[138:139], -v[142:143]
	v_fma_f64 v[44:45], v[48:49], s[12:13], v[40:41]
	v_fma_f64 v[40:41], v[48:49], s[12:13], v[34:35]
	v_add_f64 v[34:35], v[94:95], v[100:101]
	v_add_f64 v[48:49], v[96:97], -v[94:95]
	v_add_f64 v[96:97], v[142:143], -v[138:139]
	v_add_f64 v[32:33], v[32:33], v[100:101]
	v_fma_f64 v[34:35], v[34:35], -0.5, v[28:29]
	v_add_f64 v[48:49], v[48:49], v[50:51]
	v_add_f64 v[50:51], v[94:95], -v[100:101]
	v_add_f64 v[94:95], v[124:125], -v[136:137]
	v_add_f64 v[96:97], v[92:93], v[96:97]
	v_add_f64 v[100:101], v[134:135], -v[138:139]
	v_fma_f64 v[28:29], v[46:47], s[14:15], v[34:35]
	v_fma_f64 v[34:35], v[46:47], s[16:17], v[34:35]
	;; [unrolled: 1-line block ×4, first 2 shown]
	v_add_f64 v[42:43], v[74:75], v[68:69]
	v_fma_f64 v[28:29], v[48:49], s[12:13], v[28:29]
	v_fma_f64 v[48:49], v[48:49], s[12:13], v[34:35]
	v_fma_f64 v[42:43], v[42:43], -0.5, v[30:31]
	v_add_f64 v[34:35], v[30:31], v[70:71]
	v_fma_f64 v[46:47], v[50:51], s[14:15], v[42:43]
	v_fma_f64 v[42:43], v[50:51], s[16:17], v[42:43]
	v_add_f64 v[34:35], v[34:35], v[74:75]
	v_add_f64 v[74:75], v[86:87], -v[82:83]
	v_fma_f64 v[46:47], v[52:53], s[18:19], v[46:47]
	v_fma_f64 v[42:43], v[52:53], s[6:7], v[42:43]
	v_add_f64 v[34:35], v[34:35], v[68:69]
	v_add_f64 v[68:69], v[66:67], -v[86:87]
	;; [unrolled: 4-line block ×3, first 2 shown]
	v_add_f64 v[34:35], v[34:35], v[72:73]
	v_add_f64 v[72:73], v[62:63], -v[58:59]
	v_fma_f64 v[54:55], v[54:55], -0.5, v[30:31]
	v_fma_f64 v[30:31], v[52:53], s[16:17], v[54:55]
	v_fma_f64 v[52:53], v[52:53], s[14:15], v[54:55]
	v_add_f64 v[54:55], v[80:81], v[62:63]
	v_fma_f64 v[30:31], v[50:51], s[18:19], v[30:31]
	v_fma_f64 v[50:51], v[50:51], s[6:7], v[52:53]
	v_fma_f64 v[54:55], v[54:55], -0.5, v[24:25]
	v_add_f64 v[52:53], v[24:25], v[76:77]
	v_fma_f64 v[30:31], v[56:57], s[12:13], v[30:31]
	v_fma_f64 v[50:51], v[56:57], s[12:13], v[50:51]
	;; [unrolled: 1-line block ×4, first 2 shown]
	v_add_f64 v[52:53], v[52:53], v[80:81]
	v_fma_f64 v[56:57], v[70:71], s[6:7], v[56:57]
	v_fma_f64 v[54:55], v[70:71], s[18:19], v[54:55]
	v_add_f64 v[52:53], v[52:53], v[62:63]
	v_fma_f64 v[60:61], v[64:65], s[12:13], v[56:57]
	v_fma_f64 v[56:57], v[64:65], s[12:13], v[54:55]
	v_add_f64 v[54:55], v[76:77], v[58:59]
	v_add_f64 v[64:65], v[80:81], -v[76:77]
	v_add_f64 v[52:53], v[52:53], v[58:59]
	v_fma_f64 v[24:25], v[54:55], -0.5, v[24:25]
	v_add_f64 v[72:73], v[64:65], v[72:73]
	v_fma_f64 v[54:55], v[70:71], s[14:15], v[24:25]
	v_fma_f64 v[24:25], v[70:71], s[16:17], v[24:25]
	v_add_f64 v[70:71], v[76:77], -v[58:59]
	v_add_f64 v[76:77], v[106:107], -v[110:111]
	v_fma_f64 v[54:55], v[68:69], s[6:7], v[54:55]
	v_fma_f64 v[24:25], v[68:69], s[18:19], v[24:25]
	;; [unrolled: 1-line block ×4, first 2 shown]
	v_add_f64 v[24:25], v[26:27], v[66:67]
	v_add_f64 v[72:73], v[80:81], -v[62:63]
	v_add_f64 v[62:63], v[66:67], -v[78:79]
	;; [unrolled: 1-line block ×3, first 2 shown]
	v_add_f64 v[24:25], v[24:25], v[78:79]
	v_add_f64 v[74:75], v[62:63], v[74:75]
	;; [unrolled: 1-line block ×6, first 2 shown]
	v_fma_f64 v[24:25], v[24:25], -0.5, v[26:27]
	v_fma_f64 v[58:59], v[70:71], s[14:15], v[24:25]
	v_fma_f64 v[24:25], v[70:71], s[16:17], v[24:25]
	;; [unrolled: 1-line block ×6, first 2 shown]
	v_add_f64 v[24:25], v[66:67], v[86:87]
	v_add_f64 v[66:67], v[78:79], -v[66:67]
	v_add_f64 v[74:75], v[82:83], -v[86:87]
	;; [unrolled: 1-line block ×5, first 2 shown]
	v_fma_f64 v[24:25], v[24:25], -0.5, v[26:27]
	v_add_f64 v[74:75], v[66:67], v[74:75]
	v_fma_f64 v[26:27], v[72:73], s[16:17], v[24:25]
	v_fma_f64 v[24:25], v[72:73], s[14:15], v[24:25]
	v_fma_f64 v[26:27], v[70:71], s[18:19], v[26:27]
	v_fma_f64 v[24:25], v[70:71], s[6:7], v[24:25]
	v_fma_f64 v[66:67], v[74:75], s[12:13], v[26:27]
	v_add_f64 v[26:27], v[110:111], v[114:115]
	v_fma_f64 v[70:71], v[74:75], s[12:13], v[24:25]
	v_add_f64 v[74:75], v[102:103], -v[112:113]
	v_add_f64 v[24:25], v[4:5], v[106:107]
	v_fma_f64 v[26:27], v[26:27], -0.5, v[4:5]
	v_add_f64 v[24:25], v[24:25], v[110:111]
	v_fma_f64 v[72:73], v[74:75], s[16:17], v[26:27]
	v_fma_f64 v[26:27], v[74:75], s[14:15], v[26:27]
	v_add_f64 v[24:25], v[24:25], v[114:115]
	v_fma_f64 v[72:73], v[78:79], s[6:7], v[72:73]
	v_fma_f64 v[26:27], v[78:79], s[18:19], v[26:27]
	;; [unrolled: 3-line block ×3, first 2 shown]
	v_add_f64 v[26:27], v[106:107], v[116:117]
	v_add_f64 v[80:81], v[110:111], -v[106:107]
	v_add_f64 v[106:107], v[136:137], -v[140:141]
	v_fma_f64 v[4:5], v[26:27], -0.5, v[4:5]
	v_add_f64 v[82:83], v[80:81], v[82:83]
	v_fma_f64 v[26:27], v[78:79], s[14:15], v[4:5]
	v_fma_f64 v[4:5], v[78:79], s[16:17], v[4:5]
	v_add_f64 v[78:79], v[102:103], -v[104:105]
	v_fma_f64 v[26:27], v[74:75], s[6:7], v[26:27]
	v_fma_f64 v[4:5], v[74:75], s[18:19], v[4:5]
	;; [unrolled: 1-line block ×4, first 2 shown]
	v_add_f64 v[4:5], v[6:7], v[102:103]
	v_add_f64 v[82:83], v[112:113], -v[108:109]
	v_add_f64 v[4:5], v[4:5], v[104:105]
	v_add_f64 v[82:83], v[78:79], v[82:83]
	;; [unrolled: 1-line block ×5, first 2 shown]
	v_fma_f64 v[4:5], v[4:5], -0.5, v[6:7]
	v_fma_f64 v[74:75], v[86:87], s[14:15], v[4:5]
	v_fma_f64 v[4:5], v[86:87], s[16:17], v[4:5]
	;; [unrolled: 1-line block ×6, first 2 shown]
	v_add_f64 v[4:5], v[102:103], v[112:113]
	v_add_f64 v[82:83], v[104:105], -v[102:103]
	v_add_f64 v[102:103], v[118:119], -v[124:125]
	;; [unrolled: 1-line block ×3, first 2 shown]
	v_fma_f64 v[4:5], v[4:5], -0.5, v[6:7]
	v_add_f64 v[90:91], v[82:83], v[90:91]
	v_add_f64 v[102:103], v[102:103], v[104:105]
	v_add_f64 v[104:105], v[124:125], -v[118:119]
	v_fma_f64 v[6:7], v[88:89], s[16:17], v[4:5]
	v_fma_f64 v[4:5], v[88:89], s[14:15], v[4:5]
	v_add_f64 v[104:105], v[104:105], v[106:107]
	v_fma_f64 v[6:7], v[86:87], s[18:19], v[6:7]
	v_fma_f64 v[4:5], v[86:87], s[6:7], v[4:5]
	;; [unrolled: 1-line block ×3, first 2 shown]
	v_add_f64 v[6:7], v[134:135], v[138:139]
	v_fma_f64 v[86:87], v[90:91], s[12:13], v[4:5]
	v_add_f64 v[90:91], v[118:119], -v[140:141]
	v_add_f64 v[4:5], v[0:1], v[126:127]
	v_fma_f64 v[6:7], v[6:7], -0.5, v[0:1]
	v_add_f64 v[4:5], v[4:5], v[134:135]
	v_fma_f64 v[88:89], v[90:91], s[16:17], v[6:7]
	v_fma_f64 v[6:7], v[90:91], s[14:15], v[6:7]
	v_add_f64 v[4:5], v[4:5], v[138:139]
	v_fma_f64 v[88:89], v[94:95], s[6:7], v[88:89]
	v_fma_f64 v[6:7], v[94:95], s[18:19], v[6:7]
	;; [unrolled: 3-line block ×3, first 2 shown]
	v_add_f64 v[6:7], v[126:127], v[142:143]
	v_add_f64 v[96:97], v[134:135], -v[126:127]
	v_fma_f64 v[6:7], v[6:7], -0.5, v[0:1]
	v_add_f64 v[96:97], v[96:97], v[98:99]
	v_add_f64 v[98:99], v[126:127], -v[142:143]
	v_fma_f64 v[0:1], v[94:95], s[14:15], v[6:7]
	v_fma_f64 v[6:7], v[94:95], s[16:17], v[6:7]
	;; [unrolled: 1-line block ×4, first 2 shown]
	v_add_f64 v[90:91], v[124:125], v[136:137]
	v_fma_f64 v[0:1], v[96:97], s[12:13], v[0:1]
	v_fma_f64 v[96:97], v[96:97], s[12:13], v[6:7]
	v_fma_f64 v[90:91], v[90:91], -0.5, v[2:3]
	v_add_f64 v[6:7], v[2:3], v[118:119]
	v_fma_f64 v[94:95], v[98:99], s[14:15], v[90:91]
	v_fma_f64 v[90:91], v[98:99], s[16:17], v[90:91]
	v_add_f64 v[6:7], v[6:7], v[124:125]
	v_fma_f64 v[94:95], v[100:101], s[18:19], v[94:95]
	v_fma_f64 v[90:91], v[100:101], s[6:7], v[90:91]
	;; [unrolled: 3-line block ×3, first 2 shown]
	v_add_f64 v[102:103], v[118:119], v[140:141]
	v_add_f64 v[6:7], v[6:7], v[140:141]
	v_fma_f64 v[102:103], v[102:103], -0.5, v[2:3]
	v_fma_f64 v[2:3], v[100:101], s[16:17], v[102:103]
	v_fma_f64 v[100:101], v[100:101], s[14:15], v[102:103]
	;; [unrolled: 1-line block ×4, first 2 shown]
	v_mov_b32_e32 v100, 0x41
	v_mul_u32_u24_sdwa v101, v149, v100 dst_sel:DWORD dst_unused:UNUSED_PAD src0_sel:WORD_0 src1_sel:DWORD
	v_add_nc_u32_sdwa v101, v101, v150 dst_sel:DWORD dst_unused:UNUSED_PAD src0_sel:DWORD src1_sel:BYTE_0
	v_lshl_add_u32 v101, v101, 4, v212
	ds_write_b128 v101, v[36:39]
	ds_write_b128 v101, v[8:11] offset:208
	ds_write_b128 v101, v[16:19] offset:416
	;; [unrolled: 1-line block ×3, first 2 shown]
	v_mul_u32_u24_sdwa v8, v144, v100 dst_sel:DWORD dst_unused:UNUSED_PAD src0_sel:WORD_0 src1_sel:DWORD
	buffer_store_dword v101, off, s[48:51], 0 offset:644 ; 4-byte Folded Spill
	ds_write_b128 v101, v[12:15] offset:832
	v_fma_f64 v[2:3], v[104:105], s[12:13], v[2:3]
	v_fma_f64 v[98:99], v[104:105], s[12:13], v[98:99]
	v_add_nc_u32_sdwa v8, v8, v145 dst_sel:DWORD dst_unused:UNUSED_PAD src0_sel:DWORD src1_sel:BYTE_0
	v_lshl_add_u32 v8, v8, 4, v212
	ds_write_b128 v8, v[32:35]
	ds_write_b128 v8, v[44:47] offset:208
	ds_write_b128 v8, v[28:31] offset:416
	;; [unrolled: 1-line block ×3, first 2 shown]
	buffer_store_dword v8, off, s[48:51], 0 offset:660 ; 4-byte Folded Spill
	ds_write_b128 v8, v[40:43] offset:832
	v_mul_u32_u24_sdwa v8, v146, v100 dst_sel:DWORD dst_unused:UNUSED_PAD src0_sel:WORD_0 src1_sel:DWORD
	v_lshlrev_b32_e32 v100, 6, v211
	v_add_nc_u32_sdwa v8, v8, v147 dst_sel:DWORD dst_unused:UNUSED_PAD src0_sel:DWORD src1_sel:BYTE_0
	v_add_co_u32 v163, s0, s4, v100
	v_add_co_ci_u32_e64 v164, null, s5, 0, s0
	v_lshl_add_u32 v8, v8, 4, v212
	ds_write_b128 v8, v[52:55]
	ds_write_b128 v8, v[60:63] offset:208
	ds_write_b128 v8, v[64:67] offset:416
	;; [unrolled: 1-line block ×3, first 2 shown]
	buffer_store_dword v8, off, s[48:51], 0 offset:656 ; 4-byte Folded Spill
	ds_write_b128 v8, v[56:59] offset:832
	v_mad_u16 v8, 0x41, v148, v151
	v_and_b32_e32 v8, 0xffff, v8
	v_lshl_add_u32 v8, v8, 4, v212
	ds_write_b128 v8, v[24:27]
	ds_write_b128 v8, v[76:79] offset:208
	ds_write_b128 v8, v[80:83] offset:416
	;; [unrolled: 1-line block ×3, first 2 shown]
	buffer_store_dword v8, off, s[48:51], 0 offset:652 ; 4-byte Folded Spill
	ds_write_b128 v8, v[72:75] offset:832
	v_mad_u16 v8, 0x41, v152, v153
	v_and_b32_e32 v8, 0xffff, v8
	v_lshl_add_u32 v8, v8, 4, v212
	ds_write_b128 v8, v[4:7]
	ds_write_b128 v8, v[92:95] offset:208
	ds_write_b128 v8, v[0:3] offset:416
	;; [unrolled: 1-line block ×3, first 2 shown]
	buffer_store_dword v8, off, s[48:51], 0 offset:648 ; 4-byte Folded Spill
	ds_write_b128 v8, v[88:91] offset:832
	s_waitcnt lgkmcnt(0)
	s_waitcnt_vscnt null, 0x0
	s_barrier
	buffer_gl0_inv
	ds_read_b128 v[28:31], v174
	ds_read_b128 v[68:71], v174 offset:5200
	ds_read_b128 v[72:75], v174 offset:10400
	;; [unrolled: 1-line block ×24, first 2 shown]
	s_clause 0x3
	global_load_dwordx4 v[136:139], v100, s[4:5] offset:880
	global_load_dwordx4 v[140:143], v100, s[4:5] offset:864
	global_load_dwordx4 v[144:147], v100, s[4:5] offset:848
	global_load_dwordx4 v[148:151], v100, s[4:5] offset:832
	s_waitcnt vmcnt(0) lgkmcnt(23)
	v_mul_f64 v[100:101], v[70:71], v[150:151]
	v_fma_f64 v[152:153], v[68:69], v[148:149], -v[100:101]
	v_mul_f64 v[68:69], v[68:69], v[150:151]
	v_fma_f64 v[122:123], v[70:71], v[148:149], v[68:69]
	s_waitcnt lgkmcnt(22)
	v_mul_f64 v[68:69], v[74:75], v[146:147]
	v_fma_f64 v[154:155], v[72:73], v[144:145], -v[68:69]
	v_mul_f64 v[68:69], v[72:73], v[146:147]
	s_waitcnt lgkmcnt(15)
	v_mul_f64 v[72:73], v[98:99], v[138:139]
	v_fma_f64 v[126:127], v[74:75], v[144:145], v[68:69]
	v_mul_f64 v[68:69], v[78:79], v[142:143]
	v_fma_f64 v[106:107], v[96:97], v[136:137], -v[72:73]
	v_mul_f64 v[72:73], v[96:97], v[138:139]
	v_fma_f64 v[156:157], v[76:77], v[140:141], -v[68:69]
	v_mul_f64 v[68:69], v[76:77], v[142:143]
	v_fma_f64 v[72:73], v[98:99], v[136:137], v[72:73]
	v_fma_f64 v[124:125], v[78:79], v[140:141], v[68:69]
	v_mul_f64 v[68:69], v[82:83], v[138:139]
	v_fma_f64 v[158:159], v[80:81], v[136:137], -v[68:69]
	v_mul_f64 v[68:69], v[80:81], v[138:139]
	v_fma_f64 v[130:131], v[82:83], v[136:137], v[68:69]
	v_mul_f64 v[68:69], v[86:87], v[150:151]
	v_mul_lo_u16 v82, 0xfd, v165
	v_lshrrev_b16 v82, 14, v82
	v_mul_lo_u16 v82, 0x41, v82
	v_sub_nc_u16 v82, v162, v82
	v_and_b32_e32 v165, 0xff, v82
	v_fma_f64 v[76:77], v[84:85], v[148:149], -v[68:69]
	v_mul_f64 v[68:69], v[84:85], v[150:151]
	v_lshlrev_b32_e32 v82, 6, v165
	v_fma_f64 v[70:71], v[86:87], v[148:149], v[68:69]
	v_mul_f64 v[68:69], v[90:91], v[146:147]
	v_fma_f64 v[78:79], v[88:89], v[144:145], -v[68:69]
	v_mul_f64 v[68:69], v[88:89], v[146:147]
	v_fma_f64 v[74:75], v[90:91], v[144:145], v[68:69]
	v_mul_f64 v[68:69], v[94:95], v[142:143]
	v_fma_f64 v[80:81], v[92:93], v[140:141], -v[68:69]
	v_mul_f64 v[68:69], v[92:93], v[142:143]
	v_fma_f64 v[68:69], v[94:95], v[140:141], v[68:69]
	s_clause 0x3
	global_load_dwordx4 v[84:87], v82, s[4:5] offset:880
	global_load_dwordx4 v[88:91], v82, s[4:5] offset:864
	;; [unrolled: 1-line block ×4, first 2 shown]
	s_waitcnt vmcnt(0) lgkmcnt(13)
	v_mul_f64 v[82:83], v[66:67], v[98:99]
	v_fma_f64 v[132:133], v[64:65], v[96:97], -v[82:83]
	v_mul_f64 v[64:65], v[64:65], v[98:99]
	buffer_store_dword v96, off, s[48:51], 0 offset:712 ; 4-byte Folded Spill
	buffer_store_dword v97, off, s[48:51], 0 offset:716 ; 4-byte Folded Spill
	;; [unrolled: 1-line block ×4, first 2 shown]
	v_fma_f64 v[66:67], v[66:67], v[96:97], v[64:65]
	s_waitcnt lgkmcnt(12)
	v_mul_f64 v[64:65], v[62:63], v[94:95]
	v_fma_f64 v[134:135], v[60:61], v[92:93], -v[64:65]
	v_mul_f64 v[60:61], v[60:61], v[94:95]
	buffer_store_dword v92, off, s[48:51], 0 offset:696 ; 4-byte Folded Spill
	buffer_store_dword v93, off, s[48:51], 0 offset:700 ; 4-byte Folded Spill
	;; [unrolled: 1-line block ×4, first 2 shown]
	v_fma_f64 v[114:115], v[62:63], v[92:93], v[60:61]
	s_waitcnt lgkmcnt(11)
	v_mul_f64 v[60:61], v[58:59], v[90:91]
	v_fma_f64 v[62:63], v[56:57], v[88:89], -v[60:61]
	v_mul_f64 v[56:57], v[56:57], v[90:91]
	buffer_store_dword v88, off, s[48:51], 0 offset:680 ; 4-byte Folded Spill
	buffer_store_dword v89, off, s[48:51], 0 offset:684 ; 4-byte Folded Spill
	;; [unrolled: 1-line block ×4, first 2 shown]
	v_add_f64 v[60:61], v[68:69], -v[72:73]
	v_fma_f64 v[110:111], v[58:59], v[88:89], v[56:57]
	s_waitcnt lgkmcnt(10)
	v_mul_f64 v[56:57], v[54:55], v[86:87]
	v_fma_f64 v[58:59], v[52:53], v[84:85], -v[56:57]
	v_mul_f64 v[52:53], v[52:53], v[86:87]
	buffer_store_dword v84, off, s[48:51], 0 offset:664 ; 4-byte Folded Spill
	buffer_store_dword v85, off, s[48:51], 0 offset:668 ; 4-byte Folded Spill
	buffer_store_dword v86, off, s[48:51], 0 offset:672 ; 4-byte Folded Spill
	buffer_store_dword v87, off, s[48:51], 0 offset:676 ; 4-byte Folded Spill
	v_add_f64 v[56:57], v[72:73], -v[68:69]
	v_fma_f64 v[116:117], v[54:55], v[84:85], v[52:53]
	v_mov_b32_e32 v54, 0xfc1
	v_mul_u32_u24_sdwa v52, v161, v54 dst_sel:DWORD dst_unused:UNUSED_PAD src0_sel:WORD_0 src1_sel:DWORD
	v_lshrrev_b32_e32 v52, 18, v52
	v_mul_lo_u16 v52, 0x41, v52
	v_sub_nc_u16 v166, v161, v52
	v_add_f64 v[64:65], v[66:67], -v[116:117]
	v_lshlrev_b16 v52, 6, v166
	v_and_b32_e32 v52, 0xffff, v52
	v_add_co_u32 v52, s0, s4, v52
	v_add_co_ci_u32_e64 v53, null, s5, 0, s0
	s_clause 0x3
	global_load_dwordx4 v[84:87], v[52:53], off offset:880
	global_load_dwordx4 v[88:91], v[52:53], off offset:864
	global_load_dwordx4 v[92:95], v[52:53], off offset:848
	global_load_dwordx4 v[96:99], v[52:53], off offset:832
	s_waitcnt vmcnt(0) lgkmcnt(8)
	v_mul_f64 v[52:53], v[50:51], v[98:99]
	v_fma_f64 v[108:109], v[48:49], v[96:97], -v[52:53]
	v_mul_f64 v[48:49], v[48:49], v[98:99]
	buffer_store_dword v96, off, s[48:51], 0 offset:776 ; 4-byte Folded Spill
	buffer_store_dword v97, off, s[48:51], 0 offset:780 ; 4-byte Folded Spill
	buffer_store_dword v98, off, s[48:51], 0 offset:784 ; 4-byte Folded Spill
	buffer_store_dword v99, off, s[48:51], 0 offset:788 ; 4-byte Folded Spill
	v_fma_f64 v[82:83], v[50:51], v[96:97], v[48:49]
	s_waitcnt lgkmcnt(7)
	v_mul_f64 v[48:49], v[46:47], v[94:95]
	v_fma_f64 v[112:113], v[44:45], v[92:93], -v[48:49]
	v_mul_f64 v[44:45], v[44:45], v[94:95]
	buffer_store_dword v92, off, s[48:51], 0 offset:760 ; 4-byte Folded Spill
	buffer_store_dword v93, off, s[48:51], 0 offset:764 ; 4-byte Folded Spill
	buffer_store_dword v94, off, s[48:51], 0 offset:768 ; 4-byte Folded Spill
	buffer_store_dword v95, off, s[48:51], 0 offset:772 ; 4-byte Folded Spill
	v_fma_f64 v[94:95], v[46:47], v[92:93], v[44:45]
	s_waitcnt lgkmcnt(6)
	;; [unrolled: 9-line block ×3, first 2 shown]
	v_mul_f64 v[40:41], v[38:39], v[86:87]
	v_fma_f64 v[120:121], v[36:37], v[84:85], -v[40:41]
	v_mul_f64 v[36:37], v[36:37], v[86:87]
	buffer_store_dword v84, off, s[48:51], 0 offset:728 ; 4-byte Folded Spill
	buffer_store_dword v85, off, s[48:51], 0 offset:732 ; 4-byte Folded Spill
	buffer_store_dword v86, off, s[48:51], 0 offset:736 ; 4-byte Folded Spill
	buffer_store_dword v87, off, s[48:51], 0 offset:740 ; 4-byte Folded Spill
	v_fma_f64 v[96:97], v[38:39], v[84:85], v[36:37]
	v_mul_u32_u24_sdwa v36, v176, v54 dst_sel:DWORD dst_unused:UNUSED_PAD src0_sel:WORD_0 src1_sel:DWORD
	v_add_f64 v[54:55], v[70:71], -v[74:75]
	v_lshrrev_b32_e32 v36, 18, v36
	v_mul_lo_u16 v36, 0x41, v36
	v_sub_nc_u16 v167, v176, v36
	v_lshlrev_b16 v36, 6, v167
	v_add_f64 v[54:55], v[54:55], v[56:57]
	v_add_f64 v[56:57], v[74:75], -v[70:71]
	v_and_b32_e32 v36, 0xffff, v36
	v_add_co_u32 v36, s0, s4, v36
	v_add_co_ci_u32_e64 v37, null, s5, 0, s0
	s_clause 0x3
	global_load_dwordx4 v[38:41], v[36:37], off offset:880
	global_load_dwordx4 v[42:45], v[36:37], off offset:864
	;; [unrolled: 1-line block ×4, first 2 shown]
	v_add_f64 v[56:57], v[56:57], v[60:61]
	v_add_f64 v[60:61], v[132:133], -v[134:135]
	s_waitcnt vmcnt(0) lgkmcnt(3)
	v_mul_f64 v[36:37], v[34:35], v[52:53]
	v_fma_f64 v[98:99], v[32:33], v[50:51], -v[36:37]
	v_mul_f64 v[32:33], v[32:33], v[52:53]
	buffer_store_dword v50, off, s[48:51], 0 offset:844 ; 4-byte Folded Spill
	buffer_store_dword v51, off, s[48:51], 0 offset:848 ; 4-byte Folded Spill
	;; [unrolled: 1-line block ×4, first 2 shown]
	v_add_f64 v[36:37], v[154:155], -v[156:157]
	v_add_f64 v[52:53], v[78:79], -v[80:81]
	v_fma_f64 v[84:85], v[34:35], v[50:51], v[32:33]
	s_waitcnt lgkmcnt(2)
	v_mul_f64 v[32:33], v[26:27], v[48:49]
	v_add_f64 v[34:35], v[156:157], -v[158:159]
	v_add_f64 v[50:51], v[80:81], -v[106:107]
	v_fma_f64 v[100:101], v[24:25], v[46:47], -v[32:33]
	v_mul_f64 v[24:25], v[24:25], v[48:49]
	buffer_store_dword v46, off, s[48:51], 0 offset:828 ; 4-byte Folded Spill
	buffer_store_dword v47, off, s[48:51], 0 offset:832 ; 4-byte Folded Spill
	;; [unrolled: 1-line block ×4, first 2 shown]
	v_add_f64 v[32:33], v[158:159], -v[156:157]
	v_add_f64 v[48:49], v[106:107], -v[80:81]
	v_fma_f64 v[88:89], v[26:27], v[46:47], v[24:25]
	s_waitcnt lgkmcnt(1)
	v_mul_f64 v[24:25], v[22:23], v[44:45]
	v_add_f64 v[26:27], v[126:127], -v[124:125]
	v_add_f64 v[46:47], v[74:75], -v[68:69]
	v_fma_f64 v[102:103], v[20:21], v[42:43], -v[24:25]
	v_mul_f64 v[20:21], v[20:21], v[44:45]
	buffer_store_dword v42, off, s[48:51], 0 offset:812 ; 4-byte Folded Spill
	buffer_store_dword v43, off, s[48:51], 0 offset:816 ; 4-byte Folded Spill
	;; [unrolled: 1-line block ×4, first 2 shown]
	v_add_f64 v[24:25], v[152:153], -v[154:155]
	v_add_f64 v[44:45], v[76:77], -v[78:79]
	v_add_f64 v[32:33], v[24:25], v[32:33]
	v_add_f64 v[48:49], v[44:45], v[48:49]
	v_fma_f64 v[86:87], v[22:23], v[42:43], v[20:21]
	s_waitcnt lgkmcnt(0)
	v_mul_f64 v[20:21], v[18:19], v[40:41]
	v_add_f64 v[22:23], v[122:123], -v[130:131]
	v_add_f64 v[42:43], v[124:125], -v[130:131]
	v_fma_f64 v[104:105], v[16:17], v[38:39], -v[20:21]
	v_mul_f64 v[16:17], v[16:17], v[40:41]
	buffer_store_dword v38, off, s[48:51], 0 offset:796 ; 4-byte Folded Spill
	buffer_store_dword v39, off, s[48:51], 0 offset:800 ; 4-byte Folded Spill
	;; [unrolled: 1-line block ×4, first 2 shown]
	v_add_f64 v[40:41], v[130:131], -v[124:125]
	s_waitcnt_vscnt null, 0x0
	s_barrier
	buffer_gl0_inv
	v_fma_f64 v[90:91], v[18:19], v[38:39], v[16:17]
	v_add_f64 v[18:19], v[154:155], v[156:157]
	v_add_f64 v[16:17], v[28:29], v[152:153]
	v_add_f64 v[38:39], v[122:123], -v[126:127]
	v_fma_f64 v[18:19], v[18:19], -0.5, v[28:29]
	v_add_f64 v[16:17], v[16:17], v[154:155]
	v_add_f64 v[38:39], v[38:39], v[40:41]
	v_add_f64 v[40:41], v[126:127], -v[122:123]
	v_fma_f64 v[20:21], v[22:23], s[16:17], v[18:19]
	v_fma_f64 v[18:19], v[22:23], s[14:15], v[18:19]
	v_add_f64 v[16:17], v[16:17], v[156:157]
	v_add_f64 v[40:41], v[40:41], v[42:43]
	v_add_f64 v[42:43], v[70:71], -v[72:73]
	v_fma_f64 v[20:21], v[26:27], s[6:7], v[20:21]
	v_fma_f64 v[18:19], v[26:27], s[18:19], v[18:19]
	v_add_f64 v[16:17], v[16:17], v[158:159]
	v_fma_f64 v[24:25], v[32:33], s[12:13], v[20:21]
	v_fma_f64 v[20:21], v[32:33], s[12:13], v[18:19]
	v_add_f64 v[18:19], v[152:153], v[158:159]
	v_add_f64 v[32:33], v[154:155], -v[152:153]
	v_fma_f64 v[18:19], v[18:19], -0.5, v[28:29]
	v_add_f64 v[32:33], v[32:33], v[34:35]
	v_add_f64 v[34:35], v[152:153], -v[158:159]
	v_fma_f64 v[28:29], v[26:27], s[14:15], v[18:19]
	v_fma_f64 v[18:19], v[26:27], s[16:17], v[18:19]
	;; [unrolled: 1-line block ×4, first 2 shown]
	v_add_f64 v[22:23], v[126:127], v[124:125]
	v_fma_f64 v[28:29], v[32:33], s[12:13], v[28:29]
	v_fma_f64 v[32:33], v[32:33], s[12:13], v[18:19]
	v_fma_f64 v[22:23], v[22:23], -0.5, v[30:31]
	v_add_f64 v[18:19], v[30:31], v[122:123]
	v_fma_f64 v[26:27], v[34:35], s[14:15], v[22:23]
	v_fma_f64 v[22:23], v[34:35], s[16:17], v[22:23]
	v_add_f64 v[18:19], v[18:19], v[126:127]
	v_fma_f64 v[26:27], v[36:37], s[18:19], v[26:27]
	v_fma_f64 v[22:23], v[36:37], s[6:7], v[22:23]
	;; [unrolled: 3-line block ×3, first 2 shown]
	v_add_f64 v[38:39], v[122:123], v[130:131]
	v_add_f64 v[18:19], v[18:19], v[130:131]
	v_fma_f64 v[38:39], v[38:39], -0.5, v[30:31]
	v_fma_f64 v[30:31], v[36:37], s[16:17], v[38:39]
	v_fma_f64 v[36:37], v[36:37], s[14:15], v[38:39]
	v_add_f64 v[38:39], v[78:79], v[80:81]
	v_fma_f64 v[30:31], v[34:35], s[18:19], v[30:31]
	v_fma_f64 v[34:35], v[34:35], s[6:7], v[36:37]
	v_fma_f64 v[38:39], v[38:39], -0.5, v[12:13]
	v_add_f64 v[36:37], v[12:13], v[76:77]
	v_fma_f64 v[30:31], v[40:41], s[12:13], v[30:31]
	v_fma_f64 v[34:35], v[40:41], s[12:13], v[34:35]
	;; [unrolled: 1-line block ×4, first 2 shown]
	v_add_f64 v[36:37], v[36:37], v[78:79]
	v_fma_f64 v[40:41], v[46:47], s[6:7], v[40:41]
	v_fma_f64 v[38:39], v[46:47], s[18:19], v[38:39]
	v_add_f64 v[36:37], v[36:37], v[80:81]
	v_add_f64 v[80:81], v[120:121], -v[118:119]
	v_fma_f64 v[44:45], v[48:49], s[12:13], v[40:41]
	v_fma_f64 v[40:41], v[48:49], s[12:13], v[38:39]
	v_add_f64 v[38:39], v[76:77], v[106:107]
	v_add_f64 v[48:49], v[78:79], -v[76:77]
	v_add_f64 v[78:79], v[94:95], -v[92:93]
	v_add_f64 v[36:37], v[36:37], v[106:107]
	v_fma_f64 v[38:39], v[38:39], -0.5, v[12:13]
	v_add_f64 v[48:49], v[48:49], v[50:51]
	v_add_f64 v[50:51], v[76:77], -v[106:107]
	v_add_f64 v[76:77], v[108:109], -v[112:113]
	;; [unrolled: 1-line block ×3, first 2 shown]
	v_fma_f64 v[12:13], v[46:47], s[14:15], v[38:39]
	v_fma_f64 v[38:39], v[46:47], s[16:17], v[38:39]
	v_add_f64 v[80:81], v[76:77], v[80:81]
	v_fma_f64 v[12:13], v[42:43], s[6:7], v[12:13]
	v_fma_f64 v[38:39], v[42:43], s[18:19], v[38:39]
	v_add_f64 v[42:43], v[74:75], v[68:69]
	v_fma_f64 v[12:13], v[48:49], s[12:13], v[12:13]
	v_fma_f64 v[48:49], v[48:49], s[12:13], v[38:39]
	v_fma_f64 v[42:43], v[42:43], -0.5, v[14:15]
	v_add_f64 v[38:39], v[14:15], v[70:71]
	v_fma_f64 v[46:47], v[50:51], s[14:15], v[42:43]
	v_fma_f64 v[42:43], v[50:51], s[16:17], v[42:43]
	v_add_f64 v[38:39], v[38:39], v[74:75]
	v_add_f64 v[74:75], v[116:117], -v[110:111]
	v_fma_f64 v[46:47], v[52:53], s[18:19], v[46:47]
	v_fma_f64 v[42:43], v[52:53], s[6:7], v[42:43]
	v_add_f64 v[38:39], v[38:39], v[68:69]
	v_add_f64 v[68:69], v[114:115], -v[110:111]
	;; [unrolled: 4-line block ×3, first 2 shown]
	v_add_f64 v[38:39], v[38:39], v[72:73]
	v_add_f64 v[72:73], v[62:63], -v[58:59]
	v_fma_f64 v[54:55], v[54:55], -0.5, v[14:15]
	v_add_f64 v[70:71], v[60:61], v[70:71]
	v_fma_f64 v[14:15], v[52:53], s[16:17], v[54:55]
	v_fma_f64 v[52:53], v[52:53], s[14:15], v[54:55]
	v_add_f64 v[54:55], v[134:135], v[62:63]
	v_fma_f64 v[14:15], v[50:51], s[18:19], v[14:15]
	v_fma_f64 v[50:51], v[50:51], s[6:7], v[52:53]
	v_fma_f64 v[54:55], v[54:55], -0.5, v[8:9]
	v_add_f64 v[52:53], v[8:9], v[132:133]
	v_fma_f64 v[14:15], v[56:57], s[12:13], v[14:15]
	v_fma_f64 v[50:51], v[56:57], s[12:13], v[50:51]
	v_fma_f64 v[56:57], v[64:65], s[16:17], v[54:55]
	v_fma_f64 v[54:55], v[64:65], s[14:15], v[54:55]
	v_add_f64 v[52:53], v[52:53], v[134:135]
	ds_write_b128 v174, v[16:19]
	ds_write_b128 v174, v[24:27] offset:1040
	ds_write_b128 v174, v[28:31] offset:2080
	;; [unrolled: 1-line block ×9, first 2 shown]
	v_lshl_add_u32 v12, v165, 4, v212
	v_add_co_u32 v36, s0, 0x1380, v163
	v_add_co_ci_u32_e64 v37, s0, 0, v164, s0
	v_add_co_u32 v50, s0, 0x1000, v163
	v_add_co_ci_u32_e64 v51, s0, 0, v164, s0
	v_fma_f64 v[56:57], v[68:69], s[6:7], v[56:57]
	v_fma_f64 v[54:55], v[68:69], s[18:19], v[54:55]
	v_add_f64 v[52:53], v[52:53], v[62:63]
	v_fma_f64 v[60:61], v[70:71], s[12:13], v[56:57]
	v_fma_f64 v[56:57], v[70:71], s[12:13], v[54:55]
	v_add_f64 v[54:55], v[132:133], v[58:59]
	v_add_f64 v[70:71], v[134:135], -v[132:133]
	v_add_f64 v[52:53], v[52:53], v[58:59]
	v_fma_f64 v[54:55], v[54:55], -0.5, v[8:9]
	v_add_f64 v[70:71], v[70:71], v[72:73]
	v_add_f64 v[72:73], v[134:135], -v[62:63]
	v_add_f64 v[62:63], v[66:67], -v[114:115]
	v_fma_f64 v[8:9], v[68:69], s[14:15], v[54:55]
	v_fma_f64 v[54:55], v[68:69], s[16:17], v[54:55]
	v_add_f64 v[68:69], v[114:115], v[110:111]
	v_add_f64 v[74:75], v[62:63], v[74:75]
	v_fma_f64 v[8:9], v[64:65], s[6:7], v[8:9]
	v_fma_f64 v[54:55], v[64:65], s[18:19], v[54:55]
	v_fma_f64 v[68:69], v[68:69], -0.5, v[10:11]
	v_fma_f64 v[8:9], v[70:71], s[12:13], v[8:9]
	v_fma_f64 v[64:65], v[70:71], s[12:13], v[54:55]
	v_add_f64 v[70:71], v[132:133], -v[58:59]
	v_add_f64 v[54:55], v[10:11], v[66:67]
	v_fma_f64 v[58:59], v[70:71], s[14:15], v[68:69]
	v_add_f64 v[54:55], v[54:55], v[114:115]
	v_fma_f64 v[58:59], v[72:73], s[18:19], v[58:59]
	;; [unrolled: 2-line block ×3, first 2 shown]
	v_fma_f64 v[58:59], v[70:71], s[16:17], v[68:69]
	v_add_f64 v[68:69], v[66:67], v[116:117]
	v_add_f64 v[66:67], v[114:115], -v[66:67]
	v_add_f64 v[114:115], v[102:103], -v[104:105]
	v_add_f64 v[54:55], v[54:55], v[116:117]
	v_fma_f64 v[58:59], v[72:73], s[6:7], v[58:59]
	v_fma_f64 v[68:69], v[68:69], -0.5, v[10:11]
	v_fma_f64 v[58:59], v[74:75], s[12:13], v[58:59]
	v_fma_f64 v[10:11], v[72:73], s[16:17], v[68:69]
	;; [unrolled: 1-line block ×3, first 2 shown]
	v_add_f64 v[74:75], v[110:111], -v[116:117]
	v_add_f64 v[110:111], v[82:83], -v[94:95]
	v_fma_f64 v[10:11], v[70:71], s[18:19], v[10:11]
	v_fma_f64 v[68:69], v[70:71], s[6:7], v[68:69]
	v_add_f64 v[70:71], v[112:113], v[118:119]
	v_add_f64 v[66:67], v[66:67], v[74:75]
	v_add_f64 v[74:75], v[82:83], -v[96:97]
	v_fma_f64 v[70:71], v[70:71], -0.5, v[4:5]
	v_fma_f64 v[10:11], v[66:67], s[12:13], v[10:11]
	v_fma_f64 v[66:67], v[66:67], s[12:13], v[68:69]
	v_add_f64 v[68:69], v[4:5], v[108:109]
	ds_write_b128 v12, v[52:55] offset:10400
	ds_write_b128 v12, v[60:63] offset:11440
	ds_write_b128 v12, v[8:11] offset:12480
	ds_write_b128 v12, v[64:67] offset:13520
	v_fma_f64 v[72:73], v[74:75], s[16:17], v[70:71]
	v_fma_f64 v[70:71], v[74:75], s[14:15], v[70:71]
	v_and_b32_e32 v8, 0xffff, v166
	v_add_f64 v[68:69], v[68:69], v[112:113]
	buffer_store_dword v12, off, s[48:51], 0 offset:864 ; 4-byte Folded Spill
	ds_write_b128 v12, v[56:59] offset:14560
	v_lshl_add_u32 v8, v8, 4, v212
	v_fma_f64 v[72:73], v[78:79], s[6:7], v[72:73]
	v_fma_f64 v[70:71], v[78:79], s[18:19], v[70:71]
	v_add_f64 v[68:69], v[68:69], v[118:119]
	v_fma_f64 v[76:77], v[80:81], s[12:13], v[72:73]
	v_fma_f64 v[72:73], v[80:81], s[12:13], v[70:71]
	v_add_f64 v[70:71], v[108:109], v[120:121]
	v_add_f64 v[80:81], v[112:113], -v[108:109]
	v_add_f64 v[68:69], v[68:69], v[120:121]
	v_fma_f64 v[70:71], v[70:71], -0.5, v[4:5]
	v_add_f64 v[80:81], v[80:81], v[106:107]
	v_add_f64 v[106:107], v[108:109], -v[120:121]
	v_add_f64 v[108:109], v[112:113], -v[118:119]
	v_add_f64 v[112:113], v[96:97], -v[92:93]
	v_fma_f64 v[4:5], v[78:79], s[14:15], v[70:71]
	v_fma_f64 v[70:71], v[78:79], s[16:17], v[70:71]
	v_add_f64 v[110:111], v[110:111], v[112:113]
	v_add_f64 v[112:113], v[104:105], -v[102:103]
	v_fma_f64 v[4:5], v[74:75], s[6:7], v[4:5]
	v_fma_f64 v[70:71], v[74:75], s[18:19], v[70:71]
	v_add_f64 v[74:75], v[94:95], v[92:93]
	v_fma_f64 v[4:5], v[80:81], s[12:13], v[4:5]
	v_fma_f64 v[80:81], v[80:81], s[12:13], v[70:71]
	v_fma_f64 v[74:75], v[74:75], -0.5, v[6:7]
	v_add_f64 v[70:71], v[6:7], v[82:83]
	v_fma_f64 v[78:79], v[106:107], s[14:15], v[74:75]
	v_fma_f64 v[74:75], v[106:107], s[16:17], v[74:75]
	v_add_f64 v[70:71], v[70:71], v[94:95]
	v_fma_f64 v[78:79], v[108:109], s[18:19], v[78:79]
	v_fma_f64 v[74:75], v[108:109], s[6:7], v[74:75]
	v_add_f64 v[70:71], v[70:71], v[92:93]
	v_add_f64 v[92:93], v[92:93], -v[96:97]
	v_fma_f64 v[78:79], v[110:111], s[12:13], v[78:79]
	v_fma_f64 v[74:75], v[110:111], s[12:13], v[74:75]
	v_add_f64 v[110:111], v[82:83], v[96:97]
	v_add_f64 v[82:83], v[94:95], -v[82:83]
	v_add_f64 v[94:95], v[100:101], v[102:103]
	v_add_f64 v[70:71], v[70:71], v[96:97]
	v_fma_f64 v[110:111], v[110:111], -0.5, v[6:7]
	v_add_f64 v[82:83], v[82:83], v[92:93]
	v_fma_f64 v[94:95], v[94:95], -0.5, v[0:1]
	v_fma_f64 v[6:7], v[108:109], s[16:17], v[110:111]
	v_fma_f64 v[92:93], v[108:109], s[14:15], v[110:111]
	v_add_f64 v[108:109], v[84:85], -v[90:91]
	v_add_f64 v[110:111], v[88:89], -v[86:87]
	v_fma_f64 v[6:7], v[106:107], s[18:19], v[6:7]
	v_fma_f64 v[92:93], v[106:107], s[6:7], v[92:93]
	;; [unrolled: 1-line block ×3, first 2 shown]
	v_add_f64 v[106:107], v[98:99], -v[100:101]
	v_fma_f64 v[94:95], v[108:109], s[14:15], v[94:95]
	v_fma_f64 v[6:7], v[82:83], s[12:13], v[6:7]
	;; [unrolled: 1-line block ×4, first 2 shown]
	v_add_f64 v[106:107], v[106:107], v[112:113]
	v_fma_f64 v[94:95], v[110:111], s[18:19], v[94:95]
	v_add_f64 v[92:93], v[0:1], v[98:99]
	v_add_f64 v[112:113], v[100:101], -v[98:99]
	ds_write_b128 v8, v[68:71] offset:15600
	ds_write_b128 v8, v[76:79] offset:16640
	;; [unrolled: 1-line block ×4, first 2 shown]
	v_and_b32_e32 v4, 0xffff, v167
	buffer_store_dword v8, off, s[48:51], 0 offset:860 ; 4-byte Folded Spill
	ds_write_b128 v8, v[72:75] offset:19760
	v_fma_f64 v[96:97], v[106:107], s[12:13], v[96:97]
	v_fma_f64 v[106:107], v[106:107], s[12:13], v[94:95]
	v_add_f64 v[94:95], v[98:99], v[104:105]
	v_add_f64 v[92:93], v[92:93], v[100:101]
	;; [unrolled: 1-line block ×3, first 2 shown]
	v_add_f64 v[100:101], v[100:101], -v[102:103]
	v_lshl_add_u32 v4, v4, 4, v212
	v_fma_f64 v[94:95], v[94:95], -0.5, v[0:1]
	v_add_f64 v[92:93], v[92:93], v[102:103]
	v_add_f64 v[102:103], v[84:85], -v[88:89]
	v_fma_f64 v[0:1], v[110:111], s[14:15], v[94:95]
	v_fma_f64 v[94:95], v[110:111], s[16:17], v[94:95]
	v_add_f64 v[92:93], v[92:93], v[104:105]
	v_add_f64 v[104:105], v[98:99], -v[104:105]
	v_fma_f64 v[0:1], v[108:109], s[6:7], v[0:1]
	v_fma_f64 v[94:95], v[108:109], s[18:19], v[94:95]
	v_add_f64 v[108:109], v[88:89], v[86:87]
	v_fma_f64 v[0:1], v[112:113], s[12:13], v[0:1]
	v_fma_f64 v[110:111], v[112:113], s[12:13], v[94:95]
	v_fma_f64 v[108:109], v[108:109], -0.5, v[2:3]
	v_add_f64 v[112:113], v[90:91], -v[86:87]
	v_add_f64 v[94:95], v[2:3], v[84:85]
	v_fma_f64 v[98:99], v[104:105], s[14:15], v[108:109]
	v_fma_f64 v[108:109], v[104:105], s[16:17], v[108:109]
	v_add_f64 v[102:103], v[102:103], v[112:113]
	v_add_f64 v[94:95], v[94:95], v[88:89]
	v_fma_f64 v[98:99], v[100:101], s[18:19], v[98:99]
	v_fma_f64 v[108:109], v[100:101], s[6:7], v[108:109]
	v_add_f64 v[94:95], v[94:95], v[86:87]
	v_add_f64 v[86:87], v[86:87], -v[90:91]
	v_fma_f64 v[98:99], v[102:103], s[12:13], v[98:99]
	v_fma_f64 v[108:109], v[102:103], s[12:13], v[108:109]
	v_add_f64 v[102:103], v[84:85], v[90:91]
	v_add_f64 v[84:85], v[88:89], -v[84:85]
	v_add_f64 v[94:95], v[94:95], v[90:91]
	v_fma_f64 v[102:103], v[102:103], -0.5, v[2:3]
	v_add_f64 v[84:85], v[84:85], v[86:87]
	v_fma_f64 v[2:3], v[100:101], s[16:17], v[102:103]
	v_fma_f64 v[86:87], v[100:101], s[14:15], v[102:103]
	;; [unrolled: 1-line block ×6, first 2 shown]
	ds_write_b128 v4, v[92:95] offset:20800
	ds_write_b128 v4, v[96:99] offset:21840
	;; [unrolled: 1-line block ×4, first 2 shown]
	buffer_store_dword v4, off, s[48:51], 0 offset:792 ; 4-byte Folded Spill
	ds_write_b128 v4, v[106:109] offset:24960
	s_waitcnt lgkmcnt(0)
	s_waitcnt_vscnt null, 0x0
	s_barrier
	buffer_gl0_inv
	ds_read_b128 v[32:35], v174
	ds_read_b128 v[96:99], v174 offset:5200
	ds_read_b128 v[100:103], v174 offset:10400
	;; [unrolled: 1-line block ×24, first 2 shown]
	s_clause 0x3
	global_load_dwordx4 v[208:211], v[50:51], off offset:896
	global_load_dwordx4 v[110:113], v[36:37], off offset:48
	global_load_dwordx4 v[204:207], v[36:37], off offset:32
	global_load_dwordx4 v[212:215], v[36:37], off offset:16
	s_waitcnt vmcnt(3) lgkmcnt(23)
	v_mul_f64 v[36:37], v[98:99], v[210:211]
	v_fma_f64 v[104:105], v[96:97], v[208:209], -v[36:37]
	v_mul_f64 v[36:37], v[96:97], v[210:211]
	v_fma_f64 v[96:97], v[98:99], v[208:209], v[36:37]
	s_waitcnt vmcnt(0) lgkmcnt(22)
	v_mul_f64 v[36:37], v[102:103], v[214:215]
	v_fma_f64 v[108:109], v[100:101], v[212:213], -v[36:37]
	v_mul_f64 v[36:37], v[100:101], v[214:215]
	v_fma_f64 v[100:101], v[102:103], v[212:213], v[36:37]
	s_waitcnt lgkmcnt(21)
	v_mul_f64 v[36:37], v[94:95], v[206:207]
	v_fma_f64 v[172:173], v[92:93], v[204:205], -v[36:37]
	v_mul_f64 v[36:37], v[92:93], v[206:207]
	v_fma_f64 v[92:93], v[94:95], v[204:205], v[36:37]
	s_waitcnt lgkmcnt(20)
	v_mul_f64 v[36:37], v[90:91], v[112:113]
	v_fma_f64 v[94:95], v[88:89], v[110:111], -v[36:37]
	v_mul_f64 v[36:37], v[88:89], v[112:113]
	buffer_store_dword v110, off, s[48:51], 0 offset:868 ; 4-byte Folded Spill
	buffer_store_dword v111, off, s[48:51], 0 offset:872 ; 4-byte Folded Spill
	;; [unrolled: 1-line block ×4, first 2 shown]
	v_fma_f64 v[90:91], v[90:91], v[110:111], v[36:37]
	v_lshlrev_b32_e32 v36, 6, v160
	v_add_co_u32 v50, s0, s4, v36
	v_add_co_ci_u32_e64 v51, null, s5, 0, s0
	v_add_co_u32 v36, s0, 0x1380, v50
	v_add_co_ci_u32_e64 v37, s0, 0, v51, s0
	v_add_co_u32 v50, s0, 0x1000, v50
	v_add_co_ci_u32_e64 v51, s0, 0, v51, s0
	s_clause 0x3
	global_load_dwordx4 v[224:227], v[50:51], off offset:896
	global_load_dwordx4 v[216:219], v[36:37], off offset:48
	;; [unrolled: 1-line block ×4, first 2 shown]
	s_waitcnt vmcnt(3) lgkmcnt(18)
	v_mul_f64 v[36:37], v[86:87], v[226:227]
	v_fma_f64 v[98:99], v[84:85], v[224:225], -v[36:37]
	v_mul_f64 v[36:37], v[84:85], v[226:227]
	v_fma_f64 v[106:107], v[86:87], v[224:225], v[36:37]
	s_waitcnt vmcnt(0) lgkmcnt(17)
	v_mul_f64 v[36:37], v[82:83], v[230:231]
	v_fma_f64 v[102:103], v[80:81], v[228:229], -v[36:37]
	v_mul_f64 v[36:37], v[80:81], v[230:231]
	v_fma_f64 v[114:115], v[82:83], v[228:229], v[36:37]
	s_waitcnt lgkmcnt(16)
	v_mul_f64 v[36:37], v[78:79], v[222:223]
	v_fma_f64 v[116:117], v[76:77], v[220:221], -v[36:37]
	v_mul_f64 v[36:37], v[76:77], v[222:223]
	v_fma_f64 v[110:111], v[78:79], v[220:221], v[36:37]
	s_waitcnt lgkmcnt(15)
	v_mul_f64 v[36:37], v[74:75], v[218:219]
	v_fma_f64 v[120:121], v[72:73], v[216:217], -v[36:37]
	v_mul_f64 v[36:37], v[72:73], v[218:219]
	v_fma_f64 v[112:113], v[74:75], v[216:217], v[36:37]
	v_lshlrev_b32_e32 v36, 6, v162
	v_add_co_u32 v50, s0, s4, v36
	v_add_co_ci_u32_e64 v51, null, s5, 0, s0
	v_add_co_u32 v36, s0, 0x1380, v50
	v_add_co_ci_u32_e64 v37, s0, 0, v51, s0
	v_add_co_u32 v50, s0, 0x1000, v50
	v_add_co_ci_u32_e64 v51, s0, 0, v51, s0
	s_clause 0x3
	global_load_dwordx4 v[244:247], v[50:51], off offset:896
	global_load_dwordx4 v[232:235], v[36:37], off offset:48
	global_load_dwordx4 v[236:239], v[36:37], off offset:32
	global_load_dwordx4 v[240:243], v[36:37], off offset:16
	s_waitcnt vmcnt(3) lgkmcnt(13)
	v_mul_f64 v[36:37], v[70:71], v[246:247]
	s_waitcnt vmcnt(0) lgkmcnt(12)
	v_mul_f64 v[50:51], v[66:67], v[242:243]
	v_fma_f64 v[118:119], v[68:69], v[244:245], -v[36:37]
	v_mul_f64 v[36:37], v[68:69], v[246:247]
	v_fma_f64 v[166:167], v[64:65], v[240:241], -v[50:51]
	v_mul_f64 v[50:51], v[64:65], v[242:243]
	v_fma_f64 v[36:37], v[70:71], v[244:245], v[36:37]
	v_fma_f64 v[162:163], v[66:67], v[240:241], v[50:51]
	s_waitcnt lgkmcnt(11)
	v_mul_f64 v[50:51], v[6:7], v[238:239]
	v_fma_f64 v[168:169], v[4:5], v[236:237], -v[50:51]
	v_mul_f64 v[4:5], v[4:5], v[238:239]
	v_fma_f64 v[122:123], v[6:7], v[236:237], v[4:5]
	s_waitcnt lgkmcnt(10)
	v_mul_f64 v[4:5], v[2:3], v[234:235]
	v_fma_f64 v[170:171], v[0:1], v[232:233], -v[4:5]
	v_mul_f64 v[0:1], v[0:1], v[234:235]
	v_fma_f64 v[164:165], v[2:3], v[232:233], v[0:1]
	v_lshlrev_b32_e32 v0, 6, v161
	v_add_co_u32 v0, s0, s4, v0
	v_add_co_ci_u32_e64 v1, null, s5, 0, s0
	v_add_co_u32 v4, s0, 0x1380, v0
	v_add_co_ci_u32_e64 v5, s0, 0, v1, s0
	v_add_co_u32 v0, s0, 0x1000, v0
	v_add_co_ci_u32_e64 v1, s0, 0, v1, s0
	s_clause 0x3
	global_load_dwordx4 v[0:3], v[0:1], off offset:896
	global_load_dwordx4 v[248:251], v[4:5], off offset:48
	;; [unrolled: 1-line block ×4, first 2 shown]
	s_waitcnt vmcnt(3) lgkmcnt(8)
	v_mul_f64 v[50:51], v[22:23], v[2:3]
	v_fma_f64 v[154:155], v[20:21], v[0:1], -v[50:51]
	v_mul_f64 v[20:21], v[20:21], v[2:3]
	v_fma_f64 v[50:51], v[22:23], v[0:1], v[20:21]
	s_waitcnt vmcnt(0) lgkmcnt(7)
	v_mul_f64 v[20:21], v[18:19], v[6:7]
	v_fma_f64 v[156:157], v[16:17], v[4:5], -v[20:21]
	v_mul_f64 v[16:17], v[16:17], v[6:7]
	v_fma_f64 v[68:69], v[18:19], v[4:5], v[16:17]
	s_waitcnt lgkmcnt(6)
	v_mul_f64 v[16:17], v[14:15], v[254:255]
	v_fma_f64 v[158:159], v[12:13], v[252:253], -v[16:17]
	v_mul_f64 v[12:13], v[12:13], v[254:255]
	v_fma_f64 v[64:65], v[14:15], v[252:253], v[12:13]
	s_waitcnt lgkmcnt(5)
	v_mul_f64 v[12:13], v[10:11], v[250:251]
	v_fma_f64 v[160:161], v[8:9], v[248:249], -v[12:13]
	v_mul_f64 v[8:9], v[8:9], v[250:251]
	v_fma_f64 v[70:71], v[10:11], v[248:249], v[8:9]
	v_lshlrev_b32_e32 v8, 6, v176
	v_add_co_u32 v8, s0, s4, v8
	v_add_co_ci_u32_e64 v9, null, s5, 0, s0
	v_add_co_u32 v16, s0, 0x1380, v8
	v_add_co_ci_u32_e64 v17, s0, 0, v9, s0
	v_add_co_u32 v8, s0, 0x1000, v8
	v_add_co_ci_u32_e64 v9, s0, 0, v9, s0
	s_clause 0x3
	global_load_dwordx4 v[20:23], v[8:9], off offset:896
	global_load_dwordx4 v[8:11], v[16:17], off offset:48
	;; [unrolled: 1-line block ×4, first 2 shown]
	s_waitcnt vmcnt(3) lgkmcnt(3)
	v_mul_f64 v[66:67], v[62:63], v[22:23]
	v_fma_f64 v[66:67], v[60:61], v[20:21], -v[66:67]
	v_mul_f64 v[60:61], v[60:61], v[22:23]
	v_fma_f64 v[62:63], v[62:63], v[20:21], v[60:61]
	s_waitcnt vmcnt(0) lgkmcnt(2)
	v_mul_f64 v[60:61], v[58:59], v[18:19]
	v_fma_f64 v[132:133], v[56:57], v[16:17], -v[60:61]
	v_mul_f64 v[56:57], v[56:57], v[18:19]
	v_add_f64 v[60:61], v[154:155], -v[160:161]
	v_fma_f64 v[126:127], v[58:59], v[16:17], v[56:57]
	s_waitcnt lgkmcnt(1)
	v_mul_f64 v[56:57], v[48:49], v[14:15]
	v_add_f64 v[58:59], v[94:95], -v[172:173]
	v_fma_f64 v[134:135], v[46:47], v[12:13], -v[56:57]
	v_mul_f64 v[46:47], v[46:47], v[14:15]
	v_add_f64 v[56:57], v[104:105], -v[108:109]
	v_fma_f64 v[124:125], v[48:49], v[12:13], v[46:47]
	s_waitcnt lgkmcnt(0)
	v_mul_f64 v[46:47], v[44:45], v[10:11]
	v_add_f64 v[48:49], v[100:101], -v[92:93]
	v_add_f64 v[56:57], v[56:57], v[58:59]
	v_add_f64 v[58:59], v[70:71], -v[64:65]
	v_fma_f64 v[152:153], v[42:43], v[8:9], -v[46:47]
	v_mul_f64 v[42:43], v[42:43], v[10:11]
	v_fma_f64 v[130:131], v[44:45], v[8:9], v[42:43]
	v_add_f64 v[42:43], v[32:33], v[104:105]
	v_add_f64 v[44:45], v[96:97], -v[90:91]
	v_add_f64 v[42:43], v[42:43], v[108:109]
	v_add_f64 v[42:43], v[42:43], v[172:173]
	v_add_f64 v[72:73], v[42:43], v[94:95]
	v_add_f64 v[42:43], v[108:109], v[172:173]
	v_fma_f64 v[42:43], v[42:43], -0.5, v[32:33]
	v_fma_f64 v[46:47], v[44:45], s[16:17], v[42:43]
	v_fma_f64 v[42:43], v[44:45], s[14:15], v[42:43]
	;; [unrolled: 1-line block ×6, first 2 shown]
	v_add_f64 v[42:43], v[104:105], v[94:95]
	v_add_f64 v[46:47], v[108:109], -v[104:105]
	v_add_f64 v[56:57], v[172:173], -v[94:95]
	v_fma_f64 v[32:33], v[42:43], -0.5, v[32:33]
	v_add_f64 v[46:47], v[46:47], v[56:57]
	v_add_f64 v[56:57], v[90:91], -v[92:93]
	v_fma_f64 v[42:43], v[48:49], s[14:15], v[32:33]
	v_fma_f64 v[32:33], v[48:49], s[16:17], v[32:33]
	v_add_f64 v[48:49], v[96:97], -v[100:101]
	v_fma_f64 v[42:43], v[44:45], s[6:7], v[42:43]
	v_fma_f64 v[32:33], v[44:45], s[18:19], v[32:33]
	v_add_f64 v[48:49], v[48:49], v[56:57]
	v_fma_f64 v[84:85], v[46:47], s[12:13], v[42:43]
	v_fma_f64 v[88:89], v[46:47], s[12:13], v[32:33]
	v_add_f64 v[32:33], v[34:35], v[96:97]
	v_add_f64 v[42:43], v[104:105], -v[94:95]
	v_add_f64 v[46:47], v[108:109], -v[172:173]
	v_lshl_add_u32 v172, v177, 4, v178
	v_add_f64 v[32:33], v[32:33], v[100:101]
	v_add_f64 v[32:33], v[32:33], v[92:93]
	;; [unrolled: 1-line block ×4, first 2 shown]
	ds_write_b128 v174, v[72:75]
	v_fma_f64 v[32:33], v[32:33], -0.5, v[34:35]
	v_add_co_u32 v72, s0, 0x6590, v128
	v_add_co_ci_u32_e64 v73, s0, 0, v129, s0
	buffer_store_dword v177, off, s[48:51], 0 offset:104 ; 4-byte Folded Spill
	buffer_store_dword v178, off, s[48:51], 0 offset:884 ; 4-byte Folded Spill
	v_fma_f64 v[44:45], v[42:43], s[14:15], v[32:33]
	v_fma_f64 v[32:33], v[42:43], s[16:17], v[32:33]
	v_fma_f64 v[44:45], v[46:47], s[18:19], v[44:45]
	v_fma_f64 v[32:33], v[46:47], s[6:7], v[32:33]
	v_fma_f64 v[82:83], v[48:49], s[12:13], v[44:45]
	v_fma_f64 v[78:79], v[48:49], s[12:13], v[32:33]
	v_add_f64 v[32:33], v[96:97], v[90:91]
	v_add_f64 v[44:45], v[100:101], -v[96:97]
	v_add_f64 v[48:49], v[92:93], -v[90:91]
	v_fma_f64 v[32:33], v[32:33], -0.5, v[34:35]
	v_add_f64 v[44:45], v[44:45], v[48:49]
	v_add_f64 v[48:49], v[120:121], -v[116:117]
	v_fma_f64 v[34:35], v[46:47], s[16:17], v[32:33]
	v_fma_f64 v[32:33], v[46:47], s[14:15], v[32:33]
	v_add_f64 v[46:47], v[98:99], -v[102:103]
	v_fma_f64 v[34:35], v[42:43], s[18:19], v[34:35]
	v_fma_f64 v[32:33], v[42:43], s[6:7], v[32:33]
	v_add_f64 v[46:47], v[46:47], v[48:49]
	v_add_f64 v[48:49], v[160:161], -v[158:159]
	v_fma_f64 v[86:87], v[44:45], s[12:13], v[34:35]
	v_fma_f64 v[90:91], v[44:45], s[12:13], v[32:33]
	v_add_f64 v[32:33], v[28:29], v[98:99]
	v_add_f64 v[34:35], v[106:107], -v[112:113]
	v_add_f64 v[44:45], v[114:115], -v[110:111]
	v_add_f64 v[32:33], v[32:33], v[102:103]
	v_add_f64 v[32:33], v[32:33], v[116:117]
	v_add_f64 v[92:93], v[32:33], v[120:121]
	v_add_f64 v[32:33], v[102:103], v[116:117]
	v_fma_f64 v[32:33], v[32:33], -0.5, v[28:29]
	v_fma_f64 v[42:43], v[34:35], s[16:17], v[32:33]
	v_fma_f64 v[32:33], v[34:35], s[14:15], v[32:33]
	v_fma_f64 v[42:43], v[44:45], s[6:7], v[42:43]
	v_fma_f64 v[32:33], v[44:45], s[18:19], v[32:33]
	v_fma_f64 v[100:101], v[46:47], s[12:13], v[42:43]
	v_fma_f64 v[96:97], v[46:47], s[12:13], v[32:33]
	v_add_f64 v[32:33], v[98:99], v[120:121]
	v_add_f64 v[42:43], v[102:103], -v[98:99]
	v_add_f64 v[46:47], v[116:117], -v[120:121]
	v_fma_f64 v[28:29], v[32:33], -0.5, v[28:29]
	v_add_f64 v[42:43], v[42:43], v[46:47]
	v_add_f64 v[46:47], v[112:113], -v[110:111]
	v_fma_f64 v[32:33], v[44:45], s[14:15], v[28:29]
	v_fma_f64 v[28:29], v[44:45], s[16:17], v[28:29]
	v_add_f64 v[44:45], v[106:107], -v[114:115]
	v_fma_f64 v[32:33], v[34:35], s[6:7], v[32:33]
	v_fma_f64 v[28:29], v[34:35], s[18:19], v[28:29]
	v_add_f64 v[44:45], v[44:45], v[46:47]
	v_add_f64 v[46:47], v[164:165], -v[122:123]
	v_fma_f64 v[104:105], v[42:43], s[12:13], v[32:33]
	v_fma_f64 v[108:109], v[42:43], s[12:13], v[28:29]
	v_add_f64 v[28:29], v[30:31], v[106:107]
	v_add_f64 v[32:33], v[98:99], -v[120:121]
	v_add_f64 v[42:43], v[102:103], -v[116:117]
	v_add_f64 v[28:29], v[28:29], v[114:115]
	v_add_f64 v[28:29], v[28:29], v[110:111]
	v_add_f64 v[94:95], v[28:29], v[112:113]
	v_add_f64 v[28:29], v[114:115], v[110:111]
	v_fma_f64 v[28:29], v[28:29], -0.5, v[30:31]
	;; [unrolled: 29-line block ×3, first 2 shown]
	v_fma_f64 v[32:33], v[30:31], s[16:17], v[28:29]
	v_fma_f64 v[28:29], v[30:31], s[14:15], v[28:29]
	;; [unrolled: 1-line block ×5, first 2 shown]
	v_add_f64 v[32:33], v[118:119], v[170:171]
	v_fma_f64 v[28:29], v[42:43], s[12:13], v[28:29]
	v_add_f64 v[42:43], v[166:167], -v[118:119]
	v_fma_f64 v[24:25], v[32:33], -0.5, v[24:25]
	v_add_f64 v[42:43], v[42:43], v[44:45]
	v_add_f64 v[44:45], v[36:37], -v[162:163]
	v_fma_f64 v[32:33], v[34:35], s[14:15], v[24:25]
	v_fma_f64 v[24:25], v[34:35], s[16:17], v[24:25]
	v_add_f64 v[44:45], v[44:45], v[46:47]
	v_add_f64 v[46:47], v[68:69], -v[64:65]
	v_fma_f64 v[32:33], v[30:31], s[6:7], v[32:33]
	v_fma_f64 v[24:25], v[30:31], s[18:19], v[24:25]
	v_add_f64 v[30:31], v[26:27], v[36:37]
	v_fma_f64 v[120:121], v[42:43], s[12:13], v[32:33]
	v_add_f64 v[32:33], v[118:119], -v[170:171]
	v_add_f64 v[30:31], v[30:31], v[162:163]
	v_fma_f64 v[24:25], v[42:43], s[12:13], v[24:25]
	v_add_f64 v[42:43], v[166:167], -v[168:169]
	v_add_f64 v[30:31], v[30:31], v[122:123]
	v_add_f64 v[114:115], v[30:31], v[164:165]
	v_add_f64 v[30:31], v[162:163], v[122:123]
	v_fma_f64 v[30:31], v[30:31], -0.5, v[26:27]
	v_fma_f64 v[34:35], v[32:33], s[14:15], v[30:31]
	v_fma_f64 v[30:31], v[32:33], s[16:17], v[30:31]
	;; [unrolled: 1-line block ×5, first 2 shown]
	v_add_f64 v[34:35], v[36:37], v[164:165]
	v_fma_f64 v[30:31], v[44:45], s[12:13], v[30:31]
	v_add_f64 v[36:37], v[162:163], -v[36:37]
	v_add_f64 v[44:45], v[122:123], -v[164:165]
	v_fma_f64 v[26:27], v[34:35], -0.5, v[26:27]
	v_add_f64 v[36:37], v[36:37], v[44:45]
	v_add_f64 v[44:45], v[154:155], -v[156:157]
	v_fma_f64 v[34:35], v[42:43], s[16:17], v[26:27]
	v_fma_f64 v[26:27], v[42:43], s[14:15], v[26:27]
	v_add_f64 v[42:43], v[50:51], -v[70:71]
	v_add_f64 v[44:45], v[44:45], v[48:49]
	v_add_f64 v[48:49], v[158:159], -v[160:161]
	v_fma_f64 v[34:35], v[32:33], s[18:19], v[34:35]
	v_fma_f64 v[26:27], v[32:33], s[6:7], v[26:27]
	v_add_f64 v[32:33], v[38:39], v[154:155]
	v_fma_f64 v[122:123], v[36:37], s[12:13], v[34:35]
	v_fma_f64 v[26:27], v[36:37], s[12:13], v[26:27]
	v_add_f64 v[32:33], v[32:33], v[156:157]
	v_add_f64 v[32:33], v[32:33], v[158:159]
	v_add_f64 v[36:37], v[32:33], v[160:161]
	v_add_f64 v[32:33], v[156:157], v[158:159]
	v_fma_f64 v[34:35], v[32:33], -0.5, v[38:39]
	v_fma_f64 v[32:33], v[42:43], s[16:17], v[34:35]
	v_fma_f64 v[34:35], v[42:43], s[14:15], v[34:35]
	;; [unrolled: 1-line block ×6, first 2 shown]
	v_add_f64 v[34:35], v[154:155], v[160:161]
	v_add_f64 v[44:45], v[156:157], -v[154:155]
	v_add_f64 v[154:155], v[156:157], -v[158:159]
	;; [unrolled: 1-line block ×3, first 2 shown]
	v_fma_f64 v[34:35], v[34:35], -0.5, v[38:39]
	v_add_f64 v[48:49], v[44:45], v[48:49]
	v_fma_f64 v[38:39], v[46:47], s[14:15], v[34:35]
	v_fma_f64 v[34:35], v[46:47], s[16:17], v[34:35]
	v_add_f64 v[46:47], v[50:51], -v[68:69]
	v_fma_f64 v[38:39], v[42:43], s[6:7], v[38:39]
	v_fma_f64 v[34:35], v[42:43], s[18:19], v[34:35]
	v_add_f64 v[46:47], v[46:47], v[58:59]
	v_fma_f64 v[44:45], v[48:49], s[12:13], v[38:39]
	v_fma_f64 v[48:49], v[48:49], s[12:13], v[34:35]
	v_add_f64 v[34:35], v[40:41], v[50:51]
	v_add_f64 v[34:35], v[34:35], v[68:69]
	;; [unrolled: 1-line block ×5, first 2 shown]
	v_fma_f64 v[42:43], v[34:35], -0.5, v[40:41]
	v_fma_f64 v[34:35], v[60:61], s[14:15], v[42:43]
	v_fma_f64 v[42:43], v[60:61], s[16:17], v[42:43]
	;; [unrolled: 1-line block ×6, first 2 shown]
	v_add_f64 v[42:43], v[50:51], v[70:71]
	v_add_f64 v[46:47], v[68:69], -v[50:51]
	v_add_f64 v[50:51], v[64:65], -v[70:71]
	;; [unrolled: 1-line block ×4, first 2 shown]
	v_fma_f64 v[40:41], v[42:43], -0.5, v[40:41]
	v_add_f64 v[50:51], v[46:47], v[50:51]
	v_fma_f64 v[42:43], v[154:155], s[16:17], v[40:41]
	v_fma_f64 v[40:41], v[154:155], s[14:15], v[40:41]
	v_add_f64 v[154:155], v[152:153], -v[134:135]
	v_fma_f64 v[42:43], v[60:61], s[18:19], v[42:43]
	v_fma_f64 v[40:41], v[60:61], s[6:7], v[40:41]
	v_add_f64 v[154:155], v[64:65], v[154:155]
	v_fma_f64 v[46:47], v[50:51], s[12:13], v[42:43]
	v_fma_f64 v[50:51], v[50:51], s[12:13], v[40:41]
	v_add_f64 v[40:41], v[52:53], v[66:67]
	v_add_f64 v[42:43], v[62:63], -v[130:131]
	v_add_f64 v[40:41], v[40:41], v[132:133]
	v_add_f64 v[40:41], v[40:41], v[134:135]
	;; [unrolled: 1-line block ×4, first 2 shown]
	v_fma_f64 v[40:41], v[40:41], -0.5, v[52:53]
	v_fma_f64 v[60:61], v[42:43], s[16:17], v[40:41]
	v_fma_f64 v[40:41], v[42:43], s[14:15], v[40:41]
	v_fma_f64 v[60:61], v[70:71], s[6:7], v[60:61]
	v_fma_f64 v[40:41], v[70:71], s[18:19], v[40:41]
	v_fma_f64 v[64:65], v[154:155], s[12:13], v[60:61]
	v_add_f64 v[60:61], v[66:67], v[152:153]
	v_fma_f64 v[40:41], v[154:155], s[12:13], v[40:41]
	v_add_f64 v[154:155], v[132:133], -v[66:67]
	v_add_f64 v[152:153], v[66:67], -v[152:153]
	;; [unrolled: 1-line block ×4, first 2 shown]
	v_fma_f64 v[52:53], v[60:61], -0.5, v[52:53]
	v_add_f64 v[154:155], v[154:155], v[156:157]
	v_fma_f64 v[60:61], v[70:71], s[14:15], v[52:53]
	v_fma_f64 v[52:53], v[70:71], s[16:17], v[52:53]
	;; [unrolled: 1-line block ×6, first 2 shown]
	v_add_f64 v[42:43], v[54:55], v[62:63]
	v_add_f64 v[154:155], v[130:131], -v[124:125]
	v_add_f64 v[42:43], v[42:43], v[126:127]
	v_add_f64 v[134:135], v[134:135], v[154:155]
	;; [unrolled: 1-line block ×5, first 2 shown]
	v_add_f64 v[124:125], v[124:125], -v[130:131]
	v_fma_f64 v[42:43], v[42:43], -0.5, v[54:55]
	v_fma_f64 v[66:67], v[152:153], s[14:15], v[42:43]
	v_fma_f64 v[42:43], v[152:153], s[16:17], v[42:43]
	v_fma_f64 v[66:67], v[132:133], s[18:19], v[66:67]
	v_fma_f64 v[42:43], v[132:133], s[6:7], v[42:43]
	v_fma_f64 v[66:67], v[134:135], s[12:13], v[66:67]
	v_fma_f64 v[42:43], v[134:135], s[12:13], v[42:43]
	v_add_f64 v[134:135], v[62:63], v[130:131]
	v_add_f64 v[62:63], v[126:127], -v[62:63]
	v_fma_f64 v[54:55], v[134:135], -0.5, v[54:55]
	v_add_f64 v[124:125], v[62:63], v[124:125]
	v_fma_f64 v[134:135], v[132:133], s[16:17], v[54:55]
	v_fma_f64 v[54:55], v[132:133], s[14:15], v[54:55]
	;; [unrolled: 1-line block ×6, first 2 shown]
	ds_write_b128 v172, v[80:83] offset:5200
	ds_write_b128 v172, v[84:87] offset:10400
	ds_write_b128 v172, v[88:91] offset:15600
	ds_write_b128 v172, v[76:79] offset:20800
	ds_write_b128 v172, v[92:95] offset:1040
	ds_write_b128 v172, v[100:103] offset:6240
	ds_write_b128 v172, v[104:107] offset:11440
	ds_write_b128 v172, v[108:111] offset:16640
	ds_write_b128 v172, v[96:99] offset:21840
	ds_write_b128 v172, v[112:115] offset:2080
	ds_write_b128 v174, v[116:119] offset:7280
	ds_write_b128 v174, v[120:123] offset:12480
	ds_write_b128 v174, v[24:27] offset:17680
	ds_write_b128 v174, v[28:31] offset:22880
	ds_write_b128 v172, v[36:39] offset:3120
	ds_write_b128 v174, v[32:35] offset:8320
	ds_write_b128 v174, v[44:47] offset:13520
	ds_write_b128 v174, v[48:51] offset:18720
	ds_write_b128 v174, v[56:59] offset:23920
	ds_write_b128 v172, v[68:71] offset:4160
	ds_write_b128 v174, v[64:67] offset:9360
	ds_write_b128 v174, v[60:63] offset:14560
	ds_write_b128 v174, v[52:55] offset:19760
	ds_write_b128 v174, v[40:43] offset:24960
	v_add_co_u32 v78, s0, 0x6000, v128
	v_add_co_ci_u32_e64 v79, s0, 0, v129, s0
	s_waitcnt lgkmcnt(0)
	s_waitcnt_vscnt null, 0x0
	s_barrier
	buffer_gl0_inv
	ds_read_b128 v[74:77], v174
	buffer_store_dword v78, off, s[48:51], 0 offset:892 ; 4-byte Folded Spill
	buffer_store_dword v79, off, s[48:51], 0 offset:896 ; 4-byte Folded Spill
	global_load_dwordx4 v[78:81], v[78:79], off offset:1424
	s_waitcnt vmcnt(0) lgkmcnt(0)
	v_mul_f64 v[82:83], v[76:77], v[80:81]
	v_fma_f64 v[82:83], v[74:75], v[78:79], -v[82:83]
	v_mul_f64 v[74:75], v[74:75], v[80:81]
	v_fma_f64 v[84:85], v[76:77], v[78:79], v[74:75]
	global_load_dwordx4 v[78:81], v[72:73], off offset:2000
	ds_read_b128 v[74:77], v174 offset:2000
	ds_write_b128 v174, v[82:85]
	s_waitcnt vmcnt(0) lgkmcnt(1)
	v_mul_f64 v[82:83], v[76:77], v[80:81]
	v_fma_f64 v[82:83], v[74:75], v[78:79], -v[82:83]
	v_mul_f64 v[74:75], v[74:75], v[80:81]
	v_fma_f64 v[84:85], v[76:77], v[78:79], v[74:75]
	v_add_co_u32 v78, s0, 0x7000, v128
	v_add_co_ci_u32_e64 v79, s0, 0, v129, s0
	ds_read_b128 v[74:77], v174 offset:4000
	global_load_dwordx4 v[78:81], v[78:79], off offset:1328
	ds_write_b128 v174, v[82:85] offset:2000
	s_waitcnt vmcnt(0) lgkmcnt(1)
	v_mul_f64 v[82:83], v[76:77], v[80:81]
	v_fma_f64 v[82:83], v[74:75], v[78:79], -v[82:83]
	v_mul_f64 v[74:75], v[74:75], v[80:81]
	v_fma_f64 v[84:85], v[76:77], v[78:79], v[74:75]
	v_add_co_u32 v78, s0, 0x7800, v128
	v_add_co_ci_u32_e64 v79, s0, 0, v129, s0
	ds_read_b128 v[74:77], v174 offset:6000
	global_load_dwordx4 v[78:81], v[78:79], off offset:1280
	ds_write_b128 v174, v[82:85] offset:4000
	;; [unrolled: 10-line block ×11, first 2 shown]
	s_waitcnt vmcnt(0) lgkmcnt(1)
	v_mul_f64 v[82:83], v[76:77], v[80:81]
	v_fma_f64 v[82:83], v[74:75], v[78:79], -v[82:83]
	v_mul_f64 v[74:75], v[74:75], v[80:81]
	v_fma_f64 v[84:85], v[76:77], v[78:79], v[74:75]
	ds_write_b128 v174, v[82:85] offset:24000
	s_and_saveexec_b32 s1, vcc_lo
	s_cbranch_execz .LBB0_9
; %bb.8:
	global_load_dwordx4 v[78:81], v[72:73], off offset:1040
	ds_read_b128 v[74:77], v172 offset:1040
	s_waitcnt vmcnt(0) lgkmcnt(0)
	v_mul_f64 v[82:83], v[76:77], v[80:81]
	v_fma_f64 v[82:83], v[74:75], v[78:79], -v[82:83]
	v_mul_f64 v[74:75], v[74:75], v[80:81]
	v_fma_f64 v[84:85], v[76:77], v[78:79], v[74:75]
	v_add_co_u32 v78, s0, 0x800, v72
	v_add_co_ci_u32_e64 v79, s0, 0, v73, s0
	ds_read_b128 v[74:77], v172 offset:3040
	global_load_dwordx4 v[78:81], v[78:79], off offset:992
	ds_write_b128 v172, v[82:85] offset:1040
	s_waitcnt vmcnt(0) lgkmcnt(1)
	v_mul_f64 v[82:83], v[76:77], v[80:81]
	v_fma_f64 v[82:83], v[74:75], v[78:79], -v[82:83]
	v_mul_f64 v[74:75], v[74:75], v[80:81]
	v_fma_f64 v[84:85], v[76:77], v[78:79], v[74:75]
	v_add_co_u32 v78, s0, 0x1000, v72
	v_add_co_ci_u32_e64 v79, s0, 0, v73, s0
	ds_read_b128 v[74:77], v172 offset:5040
	global_load_dwordx4 v[78:81], v[78:79], off offset:944
	ds_write_b128 v172, v[82:85] offset:3040
	;; [unrolled: 10-line block ×10, first 2 shown]
	s_waitcnt vmcnt(0) lgkmcnt(1)
	v_mul_f64 v[82:83], v[76:77], v[80:81]
	v_fma_f64 v[82:83], v[74:75], v[78:79], -v[82:83]
	v_mul_f64 v[74:75], v[74:75], v[80:81]
	v_fma_f64 v[84:85], v[76:77], v[78:79], v[74:75]
	v_add_co_u32 v78, s0, 0x5800, v72
	v_add_co_ci_u32_e64 v79, s0, 0, v73, s0
	ds_read_b128 v[74:77], v172 offset:23040
	v_add_co_u32 v72, s0, 0x6000, v72
	global_load_dwordx4 v[78:81], v[78:79], off offset:512
	v_add_co_ci_u32_e64 v73, s0, 0, v73, s0
	ds_write_b128 v172, v[82:85] offset:21040
	s_waitcnt vmcnt(0) lgkmcnt(1)
	v_mul_f64 v[82:83], v[76:77], v[80:81]
	v_fma_f64 v[82:83], v[74:75], v[78:79], -v[82:83]
	v_mul_f64 v[74:75], v[74:75], v[80:81]
	v_fma_f64 v[84:85], v[76:77], v[78:79], v[74:75]
	global_load_dwordx4 v[78:81], v[72:73], off offset:464
	ds_read_b128 v[74:77], v172 offset:25040
	ds_write_b128 v172, v[82:85] offset:23040
	s_waitcnt vmcnt(0) lgkmcnt(1)
	v_mul_f64 v[72:73], v[76:77], v[80:81]
	v_fma_f64 v[72:73], v[74:75], v[78:79], -v[72:73]
	v_mul_f64 v[74:75], v[74:75], v[80:81]
	v_fma_f64 v[74:75], v[76:77], v[78:79], v[74:75]
	ds_write_b128 v172, v[72:75] offset:25040
.LBB0_9:
	s_or_b32 exec_lo, exec_lo, s1
	s_waitcnt lgkmcnt(0)
	s_waitcnt_vscnt null, 0x0
	s_barrier
	buffer_gl0_inv
	ds_read_b128 v[116:119], v174
	ds_read_b128 v[120:123], v174 offset:2000
	ds_read_b128 v[108:111], v174 offset:4000
	;; [unrolled: 1-line block ×12, first 2 shown]
	s_and_saveexec_b32 s0, vcc_lo
	s_cbranch_execz .LBB0_11
; %bb.10:
	ds_read_b128 v[24:27], v172 offset:1040
	ds_read_b128 v[28:31], v172 offset:3040
	;; [unrolled: 1-line block ×13, first 2 shown]
	s_waitcnt lgkmcnt(0)
	buffer_store_dword v72, off, s[48:51], 0 ; 4-byte Folded Spill
	buffer_store_dword v73, off, s[48:51], 0 offset:4 ; 4-byte Folded Spill
	buffer_store_dword v74, off, s[48:51], 0 offset:8 ; 4-byte Folded Spill
	;; [unrolled: 1-line block ×3, first 2 shown]
.LBB0_11:
	s_or_b32 exec_lo, exec_lo, s0
	s_waitcnt lgkmcnt(11)
	v_add_f64 v[72:73], v[116:117], v[120:121]
	v_add_f64 v[74:75], v[118:119], v[122:123]
	s_waitcnt lgkmcnt(0)
	v_add_f64 v[134:135], v[122:123], v[126:127]
	v_add_f64 v[122:123], v[122:123], -v[126:127]
	s_mov_b32 s40, 0x4267c47c
	s_mov_b32 s12, 0x42a4c3d2
	s_mov_b32 s20, 0x66966769
	s_mov_b32 s24, 0x2ef20147
	s_mov_b32 s28, 0x24c2f84
	s_mov_b32 s34, 0x4bc48dbf
	s_mov_b32 s41, 0xbfddbe06
	s_mov_b32 s13, 0xbfea55e2
	s_mov_b32 s21, 0xbfefc445
	s_mov_b32 s25, 0xbfedeba7
	s_mov_b32 s29, 0xbfe5384d
	s_mov_b32 s35, 0xbfcea1e5
	v_add_f64 v[132:133], v[120:121], v[124:125]
	v_add_f64 v[120:121], v[120:121], -v[124:125]
	s_mov_b32 s0, 0xe00740e9
	s_mov_b32 s6, 0x1ea71119
	;; [unrolled: 1-line block ×4, first 2 shown]
	v_add_f64 v[72:73], v[72:73], v[108:109]
	v_add_f64 v[74:75], v[74:75], v[110:111]
	s_mov_b32 s26, 0xd0032e0c
	v_mul_f64 v[156:157], v[122:123], s[12:13]
	v_mul_f64 v[164:165], v[122:123], s[20:21]
	;; [unrolled: 1-line block ×4, first 2 shown]
	s_mov_b32 s1, 0x3fec55a7
	s_mov_b32 s7, 0x3fe22d96
	;; [unrolled: 1-line block ×5, first 2 shown]
	v_mul_f64 v[152:153], v[134:135], s[0:1]
	v_mul_f64 v[160:161], v[134:135], s[6:7]
	;; [unrolled: 1-line block ×6, first 2 shown]
	s_mov_b32 s5, 0x3fddbe06
	s_mov_b32 s4, s40
	;; [unrolled: 1-line block ×4, first 2 shown]
	v_add_f64 v[72:73], v[72:73], v[100:101]
	v_add_f64 v[74:75], v[74:75], v[102:103]
	s_mov_b32 s19, 0x3fefc445
	v_fma_f64 v[158:159], v[132:133], s[6:7], v[156:157]
	v_fma_f64 v[156:157], v[132:133], s[6:7], -v[156:157]
	v_fma_f64 v[166:167], v[132:133], s[16:17], v[164:165]
	v_fma_f64 v[164:165], v[132:133], s[16:17], -v[164:165]
	;; [unrolled: 2-line block ×4, first 2 shown]
	s_mov_b32 s18, s20
	s_mov_b32 s39, 0x3fedeba7
	;; [unrolled: 1-line block ×7, first 2 shown]
	v_fma_f64 v[154:155], v[120:121], s[4:5], v[152:153]
	v_fma_f64 v[152:153], v[120:121], s[40:41], v[152:153]
	;; [unrolled: 1-line block ×4, first 2 shown]
	v_add_f64 v[72:73], v[72:73], v[92:93]
	v_add_f64 v[74:75], v[74:75], v[94:95]
	v_fma_f64 v[170:171], v[120:121], s[18:19], v[168:169]
	v_add_f64 v[158:159], v[116:117], v[158:159]
	v_add_f64 v[156:157], v[116:117], v[156:157]
	;; [unrolled: 1-line block ×4, first 2 shown]
	v_fma_f64 v[168:169], v[120:121], s[20:21], v[168:169]
	v_add_f64 v[178:179], v[116:117], v[178:179]
	v_fma_f64 v[180:181], v[120:121], s[38:39], v[130:131]
	v_add_f64 v[176:177], v[116:117], v[176:177]
	v_fma_f64 v[130:131], v[120:121], s[24:25], v[130:131]
	v_add_f64 v[184:185], v[116:117], v[184:185]
	v_fma_f64 v[188:189], v[120:121], s[36:37], v[186:187]
	v_add_f64 v[182:183], v[116:117], v[182:183]
	v_fma_f64 v[186:187], v[120:121], s[28:29], v[186:187]
	v_fma_f64 v[192:193], v[120:121], s[42:43], v[134:135]
	;; [unrolled: 1-line block ×3, first 2 shown]
	v_add_f64 v[154:155], v[118:119], v[154:155]
	v_add_f64 v[152:153], v[118:119], v[152:153]
	;; [unrolled: 1-line block ×7, first 2 shown]
	v_add_f64 v[202:203], v[102:103], -v[106:107]
	v_add_f64 v[200:201], v[100:101], -v[104:105]
	v_add_nc_u32_e32 v173, 0x820, v174
	s_waitcnt_vscnt null, 0x0
	v_add_f64 v[168:169], v[118:119], v[168:169]
	s_barrier
	v_add_f64 v[180:181], v[118:119], v[180:181]
	buffer_gl0_inv
	v_add_f64 v[130:131], v[118:119], v[130:131]
	v_add_f64 v[188:189], v[118:119], v[188:189]
	;; [unrolled: 1-line block ×6, first 2 shown]
	v_add_f64 v[108:109], v[108:109], -v[112:113]
	v_add_f64 v[72:73], v[72:73], v[76:77]
	v_add_f64 v[74:75], v[74:75], v[78:79]
	;; [unrolled: 1-line block ×13, first 2 shown]
	v_mul_f64 v[124:125], v[122:123], s[40:41]
	v_mul_f64 v[122:123], v[122:123], s[34:35]
	v_add_f64 v[74:75], v[74:75], v[126:127]
	v_fma_f64 v[126:127], v[132:133], s[0:1], v[124:125]
	v_fma_f64 v[124:125], v[132:133], s[0:1], -v[124:125]
	v_fma_f64 v[190:191], v[132:133], s[30:31], v[122:123]
	v_fma_f64 v[122:123], v[132:133], s[30:31], -v[122:123]
	v_add_f64 v[126:127], v[116:117], v[126:127]
	v_add_f64 v[124:125], v[116:117], v[124:125]
	;; [unrolled: 1-line block ×5, first 2 shown]
	v_add_f64 v[110:111], v[110:111], -v[114:115]
	v_mul_f64 v[112:113], v[110:111], s[12:13]
	v_fma_f64 v[114:115], v[120:121], s[6:7], v[112:113]
	v_fma_f64 v[112:113], v[120:121], s[6:7], -v[112:113]
	v_add_f64 v[114:115], v[114:115], v[126:127]
	v_mul_f64 v[126:127], v[122:123], s[6:7]
	v_add_f64 v[112:113], v[112:113], v[124:125]
	v_fma_f64 v[124:125], v[108:109], s[12:13], v[126:127]
	v_fma_f64 v[132:133], v[108:109], s[14:15], v[126:127]
	v_mul_f64 v[126:127], v[110:111], s[24:25]
	v_add_f64 v[124:125], v[124:125], v[152:153]
	v_mul_f64 v[152:153], v[122:123], s[22:23]
	v_add_f64 v[132:133], v[132:133], v[154:155]
	v_fma_f64 v[134:135], v[120:121], s[22:23], v[126:127]
	v_fma_f64 v[126:127], v[120:121], s[22:23], -v[126:127]
	v_fma_f64 v[154:155], v[108:109], s[38:39], v[152:153]
	v_fma_f64 v[152:153], v[108:109], s[24:25], v[152:153]
	v_add_f64 v[134:135], v[134:135], v[158:159]
	v_add_f64 v[126:127], v[126:127], v[156:157]
	;; [unrolled: 1-line block ×4, first 2 shown]
	v_mul_f64 v[152:153], v[110:111], s[34:35]
	v_mul_f64 v[160:161], v[122:123], s[30:31]
	v_fma_f64 v[158:159], v[120:121], s[30:31], v[152:153]
	v_fma_f64 v[152:153], v[120:121], s[30:31], -v[152:153]
	v_fma_f64 v[162:163], v[108:109], s[42:43], v[160:161]
	v_add_f64 v[158:159], v[158:159], v[166:167]
	v_add_f64 v[196:197], v[152:153], v[164:165]
	v_fma_f64 v[152:153], v[108:109], s[34:35], v[160:161]
	v_add_f64 v[194:195], v[162:163], v[170:171]
	v_add_f64 v[160:161], v[152:153], v[168:169]
	v_mul_f64 v[152:153], v[110:111], s[36:37]
	v_fma_f64 v[162:163], v[120:121], s[26:27], v[152:153]
	v_fma_f64 v[152:153], v[120:121], s[26:27], -v[152:153]
	v_add_f64 v[178:179], v[162:163], v[178:179]
	v_mul_f64 v[162:163], v[122:123], s[26:27]
	v_add_f64 v[176:177], v[152:153], v[176:177]
	v_fma_f64 v[152:153], v[108:109], s[36:37], v[162:163]
	v_fma_f64 v[164:165], v[108:109], s[28:29], v[162:163]
	v_add_f64 v[130:131], v[152:153], v[130:131]
	v_mul_f64 v[152:153], v[110:111], s[18:19]
	v_mul_f64 v[110:111], v[110:111], s[4:5]
	v_add_f64 v[180:181], v[164:165], v[180:181]
	v_fma_f64 v[162:163], v[120:121], s[16:17], v[152:153]
	v_fma_f64 v[152:153], v[120:121], s[16:17], -v[152:153]
	v_add_f64 v[184:185], v[162:163], v[184:185]
	v_mul_f64 v[162:163], v[122:123], s[16:17]
	v_add_f64 v[182:183], v[152:153], v[182:183]
	v_mul_f64 v[122:123], v[122:123], s[0:1]
	v_fma_f64 v[152:153], v[108:109], s[18:19], v[162:163]
	v_fma_f64 v[164:165], v[108:109], s[20:21], v[162:163]
	v_add_f64 v[186:187], v[152:153], v[186:187]
	v_fma_f64 v[152:153], v[120:121], s[0:1], v[110:111]
	v_fma_f64 v[110:111], v[120:121], s[0:1], -v[110:111]
	v_add_f64 v[188:189], v[164:165], v[188:189]
	v_add_f64 v[190:191], v[152:153], v[190:191]
	v_fma_f64 v[152:153], v[108:109], s[40:41], v[122:123]
	v_fma_f64 v[108:109], v[108:109], s[4:5], v[122:123]
	v_add_f64 v[120:121], v[110:111], v[116:117]
	v_add_f64 v[116:117], v[102:103], v[106:107]
	v_mul_f64 v[110:111], v[202:203], s[12:13]
	v_add_f64 v[192:193], v[152:153], v[192:193]
	v_add_f64 v[198:199], v[108:109], v[118:119]
	;; [unrolled: 1-line block ×3, first 2 shown]
	v_mul_f64 v[100:101], v[202:203], s[20:21]
	v_fma_f64 v[106:107], v[118:119], s[6:7], v[110:111]
	v_fma_f64 v[102:103], v[118:119], s[16:17], v[100:101]
	v_fma_f64 v[100:101], v[118:119], s[16:17], -v[100:101]
	v_fma_f64 v[110:111], v[118:119], s[6:7], -v[110:111]
	v_add_f64 v[106:107], v[106:107], v[184:185]
	v_add_f64 v[170:171], v[102:103], v[114:115]
	v_mul_f64 v[102:103], v[116:117], s[16:17]
	v_add_f64 v[166:167], v[100:101], v[112:113]
	v_mul_f64 v[112:113], v[116:117], s[6:7]
	v_add_f64 v[110:111], v[110:111], v[182:183]
	v_add_f64 v[182:183], v[78:79], v[82:83]
	v_add_f64 v[82:83], v[78:79], -v[82:83]
	v_fma_f64 v[100:101], v[200:201], s[20:21], v[102:103]
	v_fma_f64 v[104:105], v[200:201], s[18:19], v[102:103]
	;; [unrolled: 1-line block ×4, first 2 shown]
	v_add_f64 v[168:169], v[100:101], v[124:125]
	v_mul_f64 v[100:101], v[202:203], s[34:35]
	v_add_f64 v[164:165], v[104:105], v[132:133]
	v_add_f64 v[112:113], v[112:113], v[186:187]
	v_add_f64 v[108:109], v[108:109], v[188:189]
	v_fma_f64 v[102:103], v[118:119], s[30:31], v[100:101]
	v_fma_f64 v[100:101], v[118:119], s[30:31], -v[100:101]
	v_add_f64 v[162:163], v[102:103], v[134:135]
	v_mul_f64 v[102:103], v[116:117], s[30:31]
	v_fma_f64 v[104:105], v[200:201], s[42:43], v[102:103]
	v_add_f64 v[152:153], v[104:105], v[154:155]
	v_add_f64 v[154:155], v[100:101], v[126:127]
	v_fma_f64 v[100:101], v[200:201], s[34:35], v[102:103]
	v_add_f64 v[156:157], v[100:101], v[156:157]
	v_mul_f64 v[100:101], v[202:203], s[38:39]
	v_fma_f64 v[102:103], v[118:119], s[22:23], v[100:101]
	v_fma_f64 v[100:101], v[118:119], s[22:23], -v[100:101]
	v_add_f64 v[134:135], v[102:103], v[158:159]
	v_mul_f64 v[102:103], v[116:117], s[22:23]
	v_add_f64 v[126:127], v[100:101], v[196:197]
	v_mul_f64 v[158:159], v[116:117], s[26:27]
	v_fma_f64 v[104:105], v[200:201], s[24:25], v[102:103]
	v_fma_f64 v[100:101], v[200:201], s[38:39], v[102:103]
	v_mul_f64 v[102:103], v[202:203], s[4:5]
	v_add_f64 v[124:125], v[104:105], v[194:195]
	v_add_f64 v[132:133], v[100:101], v[160:161]
	v_fma_f64 v[100:101], v[118:119], s[0:1], v[102:103]
	v_mul_f64 v[104:105], v[116:117], s[0:1]
	v_fma_f64 v[102:103], v[118:119], s[0:1], -v[102:103]
	v_add_f64 v[160:161], v[94:95], v[98:99]
	v_add_f64 v[94:95], v[94:95], -v[98:99]
	v_fma_f64 v[116:117], v[200:201], s[36:37], v[158:159]
	v_add_f64 v[122:123], v[100:101], v[178:179]
	v_fma_f64 v[100:101], v[200:201], s[40:41], v[104:105]
	v_fma_f64 v[104:105], v[200:201], s[4:5], v[104:105]
	v_add_f64 v[102:103], v[102:103], v[176:177]
	v_add_f64 v[116:117], v[116:117], v[192:193]
	;; [unrolled: 1-line block ×4, first 2 shown]
	v_mul_f64 v[130:131], v[202:203], s[28:29]
	v_fma_f64 v[114:115], v[118:119], s[26:27], v[130:131]
	v_fma_f64 v[118:119], v[118:119], s[26:27], -v[130:131]
	v_mul_f64 v[130:131], v[160:161], s[22:23]
	v_add_f64 v[114:115], v[114:115], v[190:191]
	v_add_f64 v[118:119], v[118:119], v[120:121]
	v_fma_f64 v[120:121], v[200:201], s[28:29], v[158:159]
	v_add_f64 v[158:159], v[92:93], v[96:97]
	v_add_f64 v[92:93], v[92:93], -v[96:97]
	v_mul_f64 v[96:97], v[94:95], s[24:25]
	v_add_f64 v[120:121], v[120:121], v[198:199]
	v_fma_f64 v[98:99], v[158:159], s[22:23], v[96:97]
	v_fma_f64 v[96:97], v[158:159], s[22:23], -v[96:97]
	v_add_f64 v[98:99], v[98:99], v[170:171]
	v_fma_f64 v[170:171], v[92:93], s[38:39], v[130:131]
	v_add_f64 v[166:167], v[96:97], v[166:167]
	v_fma_f64 v[96:97], v[92:93], s[24:25], v[130:131]
	v_mul_f64 v[130:131], v[94:95], s[36:37]
	v_add_f64 v[164:165], v[170:171], v[164:165]
	v_add_f64 v[168:169], v[96:97], v[168:169]
	v_fma_f64 v[96:97], v[158:159], s[26:27], v[130:131]
	v_fma_f64 v[130:131], v[158:159], s[26:27], -v[130:131]
	v_add_f64 v[96:97], v[96:97], v[162:163]
	v_mul_f64 v[162:163], v[160:161], s[26:27]
	v_add_f64 v[130:131], v[130:131], v[154:155]
	v_fma_f64 v[154:155], v[92:93], s[36:37], v[162:163]
	v_fma_f64 v[170:171], v[92:93], s[28:29], v[162:163]
	v_add_f64 v[154:155], v[154:155], v[156:157]
	v_mul_f64 v[156:157], v[94:95], s[4:5]
	v_add_f64 v[152:153], v[170:171], v[152:153]
	v_fma_f64 v[162:163], v[158:159], s[0:1], v[156:157]
	v_fma_f64 v[156:157], v[158:159], s[0:1], -v[156:157]
	v_add_f64 v[134:135], v[162:163], v[134:135]
	v_mul_f64 v[162:163], v[160:161], s[0:1]
	v_add_f64 v[126:127], v[156:157], v[126:127]
	v_fma_f64 v[156:157], v[92:93], s[4:5], v[162:163]
	v_fma_f64 v[170:171], v[92:93], s[40:41], v[162:163]
	v_add_f64 v[132:133], v[156:157], v[132:133]
	v_mul_f64 v[156:157], v[94:95], s[20:21]
	;; [unrolled: 10-line block ×3, first 2 shown]
	v_mul_f64 v[94:95], v[94:95], s[14:15]
	v_add_f64 v[100:101], v[170:171], v[100:101]
	v_fma_f64 v[162:163], v[158:159], s[30:31], v[156:157]
	v_fma_f64 v[156:157], v[158:159], s[30:31], -v[156:157]
	v_add_f64 v[106:107], v[162:163], v[106:107]
	v_mul_f64 v[162:163], v[160:161], s[30:31]
	v_add_f64 v[110:111], v[156:157], v[110:111]
	v_fma_f64 v[156:157], v[92:93], s[42:43], v[162:163]
	v_fma_f64 v[170:171], v[92:93], s[34:35], v[162:163]
	v_add_f64 v[112:113], v[156:157], v[112:113]
	v_fma_f64 v[156:157], v[158:159], s[6:7], v[94:95]
	v_fma_f64 v[94:95], v[158:159], s[6:7], -v[94:95]
	v_add_f64 v[108:109], v[170:171], v[108:109]
	v_add_f64 v[114:115], v[156:157], v[114:115]
	v_mul_f64 v[156:157], v[160:161], s[6:7]
	v_add_f64 v[94:95], v[94:95], v[118:119]
	v_add_f64 v[118:119], v[84:85], v[88:89]
	v_add_f64 v[84:85], v[84:85], -v[88:89]
	v_fma_f64 v[160:161], v[92:93], s[12:13], v[156:157]
	v_fma_f64 v[92:93], v[92:93], s[14:15], v[156:157]
	v_add_f64 v[116:117], v[160:161], v[116:117]
	v_add_f64 v[92:93], v[92:93], v[120:121]
	;; [unrolled: 1-line block ×3, first 2 shown]
	v_add_f64 v[86:87], v[86:87], -v[90:91]
	v_mul_f64 v[88:89], v[86:87], s[28:29]
	v_fma_f64 v[90:91], v[118:119], s[26:27], v[88:89]
	v_fma_f64 v[88:89], v[118:119], s[26:27], -v[88:89]
	v_add_f64 v[98:99], v[90:91], v[98:99]
	v_mul_f64 v[90:91], v[120:121], s[26:27]
	v_add_f64 v[158:159], v[88:89], v[166:167]
	v_fma_f64 v[88:89], v[84:85], s[28:29], v[90:91]
	v_fma_f64 v[156:157], v[84:85], s[36:37], v[90:91]
	v_add_f64 v[160:161], v[88:89], v[168:169]
	v_mul_f64 v[88:89], v[86:87], s[18:19]
	v_add_f64 v[156:157], v[156:157], v[164:165]
	v_fma_f64 v[90:91], v[118:119], s[16:17], v[88:89]
	v_fma_f64 v[88:89], v[118:119], s[16:17], -v[88:89]
	v_add_f64 v[96:97], v[90:91], v[96:97]
	v_mul_f64 v[90:91], v[120:121], s[16:17]
	v_add_f64 v[130:131], v[88:89], v[130:131]
	v_fma_f64 v[88:89], v[84:85], s[18:19], v[90:91]
	v_fma_f64 v[162:163], v[84:85], s[20:21], v[90:91]
	v_add_f64 v[154:155], v[88:89], v[154:155]
	v_mul_f64 v[88:89], v[86:87], s[12:13]
	v_add_f64 v[152:153], v[162:163], v[152:153]
	;; [unrolled: 10-line block ×3, first 2 shown]
	v_fma_f64 v[90:91], v[118:119], s[30:31], v[88:89]
	v_fma_f64 v[88:89], v[118:119], s[30:31], -v[88:89]
	v_add_f64 v[122:123], v[90:91], v[122:123]
	v_mul_f64 v[90:91], v[120:121], s[30:31]
	v_add_f64 v[164:165], v[88:89], v[102:103]
	v_mul_f64 v[102:103], v[182:183], s[0:1]
	v_fma_f64 v[88:89], v[84:85], s[42:43], v[90:91]
	v_fma_f64 v[162:163], v[84:85], s[34:35], v[90:91]
	v_add_f64 v[166:167], v[88:89], v[104:105]
	v_mul_f64 v[88:89], v[86:87], s[4:5]
	v_mul_f64 v[86:87], v[86:87], s[24:25]
	v_add_f64 v[162:163], v[162:163], v[100:101]
	v_fma_f64 v[90:91], v[118:119], s[0:1], v[88:89]
	v_fma_f64 v[88:89], v[118:119], s[0:1], -v[88:89]
	v_add_f64 v[168:169], v[90:91], v[106:107]
	v_mul_f64 v[90:91], v[120:121], s[0:1]
	v_add_f64 v[176:177], v[88:89], v[110:111]
	v_mul_f64 v[110:111], v[182:183], s[26:27]
	v_fma_f64 v[88:89], v[84:85], s[4:5], v[90:91]
	v_fma_f64 v[100:101], v[84:85], s[40:41], v[90:91]
	v_add_f64 v[178:179], v[88:89], v[112:113]
	v_fma_f64 v[88:89], v[118:119], s[22:23], v[86:87]
	v_add_f64 v[170:171], v[100:101], v[108:109]
	v_mul_f64 v[100:101], v[82:83], s[4:5]
	v_mul_f64 v[108:109], v[82:83], s[28:29]
	v_fma_f64 v[86:87], v[118:119], s[22:23], -v[86:87]
	v_mul_f64 v[118:119], v[182:183], s[6:7]
	v_add_f64 v[180:181], v[88:89], v[114:115]
	v_mul_f64 v[88:89], v[120:121], s[22:23]
	v_add_f64 v[86:87], v[86:87], v[94:95]
	v_mul_f64 v[94:95], v[182:183], s[30:31]
	v_fma_f64 v[90:91], v[84:85], s[38:39], v[88:89]
	v_fma_f64 v[84:85], v[84:85], s[24:25], v[88:89]
	v_add_f64 v[88:89], v[76:77], v[80:81]
	v_add_f64 v[76:77], v[76:77], -v[80:81]
	v_add_f64 v[90:91], v[90:91], v[116:117]
	v_add_f64 v[84:85], v[84:85], v[92:93]
	v_mul_f64 v[92:93], v[82:83], s[34:35]
	v_fma_f64 v[106:107], v[76:77], s[36:37], v[110:111]
	v_mul_f64 v[116:117], v[82:83], s[14:15]
	v_fma_f64 v[104:105], v[88:89], s[26:27], v[108:109]
	v_fma_f64 v[108:109], v[88:89], s[26:27], -v[108:109]
	v_fma_f64 v[110:111], v[76:77], s[28:29], v[110:111]
	v_fma_f64 v[80:81], v[76:77], s[42:43], v[94:95]
	;; [unrolled: 1-line block ×6, first 2 shown]
	v_add_f64 v[106:107], v[106:107], v[124:125]
	v_mul_f64 v[124:125], v[82:83], s[24:25]
	v_mul_f64 v[82:83], v[82:83], s[18:19]
	v_add_f64 v[108:109], v[108:109], v[126:127]
	v_fma_f64 v[112:113], v[88:89], s[6:7], v[116:117]
	v_mul_f64 v[126:127], v[182:183], s[22:23]
	v_add_f64 v[110:111], v[110:111], v[132:133]
	v_add_f64 v[104:105], v[104:105], v[134:135]
	v_fma_f64 v[116:117], v[88:89], s[6:7], -v[116:117]
	v_fma_f64 v[92:93], v[88:89], s[30:31], -v[92:93]
	v_add_f64 v[80:81], v[80:81], v[156:157]
	v_add_f64 v[114:115], v[114:115], v[162:163]
	;; [unrolled: 1-line block ×5, first 2 shown]
	v_fma_f64 v[98:99], v[88:89], s[0:1], v[100:101]
	v_fma_f64 v[100:101], v[88:89], s[0:1], -v[100:101]
	v_fma_f64 v[120:121], v[88:89], s[22:23], v[124:125]
	v_fma_f64 v[124:125], v[88:89], s[22:23], -v[124:125]
	v_add_f64 v[112:113], v[112:113], v[122:123]
	v_fma_f64 v[122:123], v[76:77], s[38:39], v[126:127]
	v_fma_f64 v[126:127], v[76:77], s[24:25], v[126:127]
	v_add_f64 v[116:117], v[116:117], v[164:165]
	v_add_f64 v[92:93], v[92:93], v[158:159]
	;; [unrolled: 1-line block ×4, first 2 shown]
	v_fma_f64 v[130:131], v[88:89], s[16:17], v[82:83]
	v_fma_f64 v[98:99], v[76:77], s[40:41], v[102:103]
	;; [unrolled: 1-line block ×3, first 2 shown]
	v_fma_f64 v[82:83], v[88:89], s[16:17], -v[82:83]
	v_add_f64 v[120:121], v[120:121], v[168:169]
	v_add_f64 v[122:123], v[122:123], v[170:171]
	;; [unrolled: 1-line block ×5, first 2 shown]
	v_mul_f64 v[130:131], v[182:183], s[16:17]
	v_add_f64 v[98:99], v[98:99], v[152:153]
	v_add_f64 v[82:83], v[82:83], v[86:87]
	;; [unrolled: 1-line block ×3, first 2 shown]
	v_fma_f64 v[134:135], v[76:77], s[20:21], v[130:131]
	v_fma_f64 v[76:77], v[76:77], s[18:19], v[130:131]
	v_add_f64 v[134:135], v[134:135], v[90:91]
	v_add_f64 v[84:85], v[76:77], v[84:85]
	ds_write_b128 v175, v[72:75]
	ds_write_b128 v175, v[78:81] offset:16
	ds_write_b128 v175, v[96:99] offset:32
	ds_write_b128 v175, v[104:107] offset:48
	ds_write_b128 v175, v[112:115] offset:64
	ds_write_b128 v175, v[120:123] offset:80
	ds_write_b128 v175, v[132:135] offset:96
	ds_write_b128 v175, v[82:85] offset:112
	ds_write_b128 v175, v[124:127] offset:128
	ds_write_b128 v175, v[116:119] offset:144
	ds_write_b128 v175, v[108:111] offset:160
	ds_write_b128 v175, v[100:103] offset:176
	ds_write_b128 v175, v[92:95] offset:192
	s_and_saveexec_b32 s33, vcc_lo
	s_cbranch_execz .LBB0_13
; %bb.12:
	s_clause 0x3
	buffer_load_dword v166, off, s[48:51], 0
	buffer_load_dword v167, off, s[48:51], 0 offset:4
	buffer_load_dword v168, off, s[48:51], 0 offset:8
	;; [unrolled: 1-line block ×3, first 2 shown]
	v_add_f64 v[72:73], v[26:27], v[30:31]
	v_add_f64 v[74:75], v[24:25], v[28:29]
	v_add_f64 v[96:97], v[36:37], -v[40:41]
	v_add_f64 v[102:103], v[32:33], -v[52:53]
	v_add_f64 v[78:79], v[56:57], v[68:69]
	v_add_f64 v[82:83], v[58:59], -v[70:71]
	v_add_f64 v[112:113], v[38:39], v[42:43]
	v_add_f64 v[160:161], v[34:35], v[54:55]
	v_add_f64 v[162:163], v[32:33], v[52:53]
	v_add_f64 v[164:165], v[34:35], -v[54:55]
	v_add_f64 v[80:81], v[46:47], v[62:63]
	v_add_f64 v[72:73], v[72:73], v[38:39]
	;; [unrolled: 1-line block ×3, first 2 shown]
	v_add_f64 v[38:39], v[38:39], -v[42:43]
	v_mul_f64 v[122:123], v[96:97], s[4:5]
	v_add_f64 v[36:37], v[36:37], v[40:41]
	v_add_f64 v[72:73], v[72:73], v[34:35]
	;; [unrolled: 1-line block ×3, first 2 shown]
	v_mul_f64 v[32:33], v[102:103], s[28:29]
	v_fma_f64 v[34:35], v[112:113], s[0:1], -v[122:123]
	v_add_f64 v[74:75], v[48:49], -v[64:65]
	v_add_f64 v[92:93], v[72:73], v[46:47]
	v_add_f64 v[94:95], v[76:77], v[44:45]
	v_add_f64 v[76:77], v[44:45], -v[60:61]
	v_add_f64 v[46:47], v[46:47], -v[62:63]
	v_add_f64 v[44:45], v[44:45], v[60:61]
	v_add_f64 v[72:73], v[50:51], v[66:67]
	;; [unrolled: 1-line block ×4, first 2 shown]
	v_add_f64 v[50:51], v[50:51], -v[66:67]
	v_add_f64 v[48:49], v[48:49], v[64:65]
	s_waitcnt vmcnt(2)
	v_add_f64 v[84:85], v[28:29], -v[166:167]
	s_waitcnt vmcnt(0)
	v_add_f64 v[86:87], v[30:31], -v[168:169]
	v_add_f64 v[88:89], v[30:31], v[168:169]
	v_add_f64 v[90:91], v[28:29], v[166:167]
	v_add_f64 v[30:31], v[56:57], -v[68:69]
	v_add_f64 v[28:29], v[58:59], v[70:71]
	v_add_f64 v[58:59], v[92:93], v[58:59]
	;; [unrolled: 1-line block ×3, first 2 shown]
	v_mul_f64 v[98:99], v[84:85], s[34:35]
	v_mul_f64 v[100:101], v[86:87], s[34:35]
	v_mul_f64 v[104:105], v[84:85], s[28:29]
	v_mul_f64 v[106:107], v[86:87], s[28:29]
	v_mul_f64 v[108:109], v[84:85], s[24:25]
	v_mul_f64 v[110:111], v[86:87], s[24:25]
	v_mul_f64 v[114:115], v[84:85], s[20:21]
	v_mul_f64 v[116:117], v[86:87], s[20:21]
	v_mul_f64 v[118:119], v[84:85], s[12:13]
	v_mul_f64 v[120:121], v[86:87], s[12:13]
	v_mul_f64 v[84:85], v[84:85], s[40:41]
	v_mul_f64 v[86:87], v[86:87], s[40:41]
	v_add_f64 v[58:59], v[58:59], v[70:71]
	v_add_f64 v[56:57], v[56:57], v[68:69]
	v_mul_f64 v[70:71], v[164:165], s[28:29]
	v_fma_f64 v[124:125], v[88:89], s[30:31], v[98:99]
	v_fma_f64 v[126:127], v[90:91], s[30:31], -v[100:101]
	v_fma_f64 v[98:99], v[88:89], s[30:31], -v[98:99]
	v_fma_f64 v[100:101], v[90:91], s[30:31], v[100:101]
	v_fma_f64 v[130:131], v[88:89], s[26:27], v[104:105]
	v_fma_f64 v[132:133], v[90:91], s[26:27], -v[106:107]
	v_fma_f64 v[104:105], v[88:89], s[26:27], -v[104:105]
	v_fma_f64 v[106:107], v[90:91], s[26:27], v[106:107]
	;; [unrolled: 4-line block ×6, first 2 shown]
	v_mul_f64 v[90:91], v[38:39], s[4:5]
	v_add_f64 v[124:125], v[26:27], v[124:125]
	v_add_f64 v[126:127], v[24:25], v[126:127]
	;; [unrolled: 1-line block ×21, first 2 shown]
	v_fma_f64 v[24:25], v[112:113], s[0:1], v[122:123]
	v_add_f64 v[94:95], v[26:27], v[94:95]
	v_add_f64 v[120:121], v[26:27], v[120:121]
	;; [unrolled: 1-line block ×3, first 2 shown]
	v_fma_f64 v[26:27], v[36:37], s[0:1], -v[90:91]
	v_fma_f64 v[68:69], v[36:37], s[0:1], v[90:91]
	v_fma_f64 v[90:91], v[160:161], s[26:27], v[32:33]
	v_add_f64 v[34:35], v[34:35], v[98:99]
	v_mul_f64 v[98:99], v[76:77], s[14:15]
	v_fma_f64 v[32:33], v[160:161], s[26:27], -v[32:33]
	v_add_f64 v[58:59], v[58:59], v[66:67]
	v_add_f64 v[56:57], v[56:57], v[64:65]
	v_mul_f64 v[66:67], v[102:103], s[4:5]
	v_add_f64 v[24:25], v[24:25], v[124:125]
	v_add_f64 v[26:27], v[26:27], v[126:127]
	;; [unrolled: 1-line block ×3, first 2 shown]
	v_fma_f64 v[100:101], v[162:163], s[26:27], -v[70:71]
	v_fma_f64 v[70:71], v[162:163], s[26:27], v[70:71]
	v_add_f64 v[32:33], v[32:33], v[34:35]
	v_add_f64 v[58:59], v[58:59], v[62:63]
	;; [unrolled: 1-line block ×4, first 2 shown]
	v_mul_f64 v[90:91], v[46:47], s[14:15]
	v_add_f64 v[26:27], v[100:101], v[26:27]
	v_fma_f64 v[100:101], v[80:81], s[6:7], v[98:99]
	v_add_f64 v[68:69], v[70:71], v[68:69]
	v_mul_f64 v[70:71], v[74:75], s[24:25]
	v_fma_f64 v[98:99], v[80:81], s[6:7], -v[98:99]
	v_add_f64 v[54:55], v[58:59], v[54:55]
	v_add_f64 v[52:53], v[56:57], v[52:53]
	v_mul_f64 v[58:59], v[164:165], s[34:35]
	v_fma_f64 v[34:35], v[44:45], s[6:7], -v[90:91]
	v_fma_f64 v[90:91], v[44:45], s[6:7], v[90:91]
	v_add_f64 v[24:25], v[100:101], v[24:25]
	v_mul_f64 v[100:101], v[50:51], s[24:25]
	v_add_f64 v[32:33], v[98:99], v[32:33]
	v_mul_f64 v[98:99], v[30:31], s[18:19]
	v_add_f64 v[40:41], v[52:53], v[40:41]
	v_add_f64 v[26:27], v[34:35], v[26:27]
	v_fma_f64 v[34:35], v[72:73], s[22:23], v[70:71]
	v_add_f64 v[68:69], v[90:91], v[68:69]
	v_fma_f64 v[70:71], v[72:73], s[22:23], -v[70:71]
	v_fma_f64 v[90:91], v[48:49], s[22:23], -v[100:101]
	v_fma_f64 v[100:101], v[48:49], s[22:23], v[100:101]
	v_add_f64 v[24:25], v[34:35], v[24:25]
	v_mul_f64 v[34:35], v[82:83], s[18:19]
	v_add_f64 v[32:33], v[70:71], v[32:33]
	v_add_f64 v[90:91], v[90:91], v[26:27]
	v_fma_f64 v[26:27], v[28:29], s[16:17], v[98:99]
	v_add_f64 v[68:69], v[100:101], v[68:69]
	v_mul_f64 v[100:101], v[96:97], s[18:19]
	v_fma_f64 v[98:99], v[28:29], s[16:17], -v[98:99]
	v_fma_f64 v[70:71], v[78:79], s[16:17], -v[34:35]
	v_fma_f64 v[122:123], v[78:79], s[16:17], v[34:35]
	v_add_f64 v[26:27], v[26:27], v[24:25]
	v_add_f64 v[34:35], v[98:99], v[32:33]
	v_mul_f64 v[98:99], v[102:103], s[12:13]
	v_add_f64 v[24:25], v[70:71], v[90:91]
	v_mul_f64 v[70:71], v[38:39], s[18:19]
	v_fma_f64 v[90:91], v[112:113], s[16:17], v[100:101]
	v_add_f64 v[32:33], v[122:123], v[68:69]
	v_mul_f64 v[122:123], v[164:165], s[12:13]
	v_fma_f64 v[100:101], v[112:113], s[16:17], -v[100:101]
	v_fma_f64 v[124:125], v[160:161], s[6:7], v[98:99]
	v_fma_f64 v[98:99], v[160:161], s[6:7], -v[98:99]
	v_fma_f64 v[68:69], v[36:37], s[16:17], -v[70:71]
	v_add_f64 v[90:91], v[90:91], v[130:131]
	v_fma_f64 v[70:71], v[36:37], s[16:17], v[70:71]
	v_add_f64 v[100:101], v[100:101], v[104:105]
	v_fma_f64 v[104:105], v[162:163], s[6:7], -v[122:123]
	v_add_f64 v[68:69], v[68:69], v[132:133]
	v_add_f64 v[90:91], v[124:125], v[90:91]
	v_mul_f64 v[124:125], v[76:77], s[42:43]
	v_add_f64 v[70:71], v[70:71], v[106:107]
	v_add_f64 v[98:99], v[98:99], v[100:101]
	v_mul_f64 v[100:101], v[46:47], s[42:43]
	v_fma_f64 v[106:107], v[162:163], s[6:7], v[122:123]
	v_fma_f64 v[122:123], v[160:161], s[0:1], v[66:67]
	v_fma_f64 v[66:67], v[160:161], s[0:1], -v[66:67]
	v_add_f64 v[68:69], v[104:105], v[68:69]
	v_fma_f64 v[104:105], v[80:81], s[30:31], v[124:125]
	v_fma_f64 v[124:125], v[80:81], s[30:31], -v[124:125]
	v_add_f64 v[70:71], v[106:107], v[70:71]
	v_add_f64 v[90:91], v[104:105], v[90:91]
	v_fma_f64 v[104:105], v[44:45], s[30:31], -v[100:101]
	v_add_f64 v[98:99], v[124:125], v[98:99]
	v_mul_f64 v[124:125], v[76:77], s[20:21]
	v_fma_f64 v[100:101], v[44:45], s[30:31], v[100:101]
	v_add_f64 v[68:69], v[104:105], v[68:69]
	v_mul_f64 v[104:105], v[74:75], s[4:5]
	v_fma_f64 v[106:107], v[80:81], s[16:17], v[124:125]
	v_add_f64 v[70:71], v[100:101], v[70:71]
	v_fma_f64 v[124:125], v[80:81], s[16:17], -v[124:125]
	v_fma_f64 v[126:127], v[72:73], s[0:1], v[104:105]
	v_fma_f64 v[104:105], v[72:73], s[0:1], -v[104:105]
	v_add_f64 v[90:91], v[126:127], v[90:91]
	v_add_f64 v[98:99], v[104:105], v[98:99]
	v_mul_f64 v[104:105], v[96:97], s[36:37]
	v_mul_f64 v[126:127], v[50:51], s[4:5]
	v_fma_f64 v[64:65], v[112:113], s[26:27], v[104:105]
	v_fma_f64 v[130:131], v[48:49], s[0:1], -v[126:127]
	v_fma_f64 v[100:101], v[48:49], s[0:1], v[126:127]
	v_mul_f64 v[126:127], v[38:39], s[36:37]
	v_fma_f64 v[104:105], v[112:113], s[26:27], -v[104:105]
	v_add_f64 v[64:65], v[64:65], v[134:135]
	v_add_f64 v[68:69], v[130:131], v[68:69]
	;; [unrolled: 1-line block ×3, first 2 shown]
	v_fma_f64 v[100:101], v[36:37], s[26:27], -v[126:127]
	v_add_f64 v[104:105], v[104:105], v[108:109]
	v_mul_f64 v[108:109], v[50:51], s[42:43]
	v_fma_f64 v[126:127], v[36:37], s[26:27], v[126:127]
	v_add_f64 v[64:65], v[122:123], v[64:65]
	v_mul_f64 v[122:123], v[74:75], s[42:43]
	v_add_f64 v[100:101], v[100:101], v[152:153]
	v_add_f64 v[66:67], v[66:67], v[104:105]
	v_fma_f64 v[104:105], v[48:49], s[30:31], -v[108:109]
	v_add_f64 v[110:111], v[126:127], v[110:111]
	v_mul_f64 v[126:127], v[96:97], s[34:35]
	v_fma_f64 v[108:109], v[48:49], s[30:31], v[108:109]
	v_mul_f64 v[152:153], v[76:77], s[36:37]
	v_add_f64 v[64:65], v[106:107], v[64:65]
	v_fma_f64 v[106:107], v[72:73], s[30:31], v[122:123]
	v_fma_f64 v[122:123], v[72:73], s[30:31], -v[122:123]
	v_add_f64 v[66:67], v[124:125], v[66:67]
	v_mul_f64 v[124:125], v[102:103], s[38:39]
	v_add_f64 v[64:65], v[106:107], v[64:65]
	v_mul_f64 v[106:107], v[164:165], s[4:5]
	;; [unrolled: 2-line block ×3, first 2 shown]
	v_fma_f64 v[130:131], v[162:163], s[0:1], -v[106:107]
	v_fma_f64 v[106:107], v[162:163], s[0:1], v[106:107]
	v_fma_f64 v[62:63], v[72:73], s[6:7], v[122:123]
	v_fma_f64 v[122:123], v[72:73], s[6:7], -v[122:123]
	v_add_f64 v[100:101], v[130:131], v[100:101]
	v_mul_f64 v[130:131], v[46:47], s[20:21]
	v_add_f64 v[106:107], v[106:107], v[110:111]
	v_fma_f64 v[132:133], v[44:45], s[16:17], -v[130:131]
	v_fma_f64 v[110:111], v[44:45], s[16:17], v[130:131]
	v_mul_f64 v[130:131], v[76:77], s[4:5]
	v_mul_f64 v[76:77], v[76:77], s[24:25]
	v_add_f64 v[100:101], v[132:133], v[100:101]
	v_fma_f64 v[132:133], v[160:161], s[22:23], v[124:125]
	v_add_f64 v[106:107], v[110:111], v[106:107]
	v_fma_f64 v[110:111], v[80:81], s[0:1], v[130:131]
	v_fma_f64 v[124:125], v[160:161], s[22:23], -v[124:125]
	v_fma_f64 v[130:131], v[80:81], s[0:1], -v[130:131]
	v_add_f64 v[100:101], v[104:105], v[100:101]
	v_fma_f64 v[104:105], v[112:113], s[30:31], v[126:127]
	v_fma_f64 v[126:127], v[112:113], s[30:31], -v[126:127]
	v_add_f64 v[106:107], v[108:109], v[106:107]
	v_mul_f64 v[108:109], v[96:97], s[24:25]
	v_mul_f64 v[96:97], v[96:97], s[12:13]
	v_add_f64 v[104:105], v[104:105], v[154:155]
	v_mul_f64 v[154:155], v[46:47], s[36:37]
	v_add_f64 v[104:105], v[132:133], v[104:105]
	v_mul_f64 v[132:133], v[38:39], s[34:35]
	v_add_f64 v[60:61], v[110:111], v[104:105]
	v_fma_f64 v[104:105], v[36:37], s[30:31], -v[132:133]
	v_mul_f64 v[110:111], v[164:165], s[38:39]
	v_fma_f64 v[132:133], v[36:37], s[30:31], v[132:133]
	v_add_f64 v[134:135], v[62:63], v[60:61]
	v_add_f64 v[60:61], v[104:105], v[156:157]
	v_fma_f64 v[62:63], v[162:163], s[22:23], -v[110:111]
	v_add_f64 v[104:105], v[126:127], v[114:115]
	v_add_f64 v[116:117], v[132:133], v[116:117]
	v_fma_f64 v[110:111], v[162:163], s[22:23], v[110:111]
	v_mul_f64 v[132:133], v[46:47], s[4:5]
	v_mul_f64 v[114:115], v[102:103], s[34:35]
	v_fma_f64 v[126:127], v[112:113], s[22:23], v[108:109]
	v_fma_f64 v[108:109], v[112:113], s[22:23], -v[108:109]
	v_mul_f64 v[102:103], v[102:103], s[20:21]
	v_add_f64 v[156:157], v[54:55], v[42:43]
	v_mul_f64 v[46:47], v[46:47], s[24:25]
	v_add_f64 v[60:61], v[62:63], v[60:61]
	v_add_f64 v[104:105], v[124:125], v[104:105]
	v_mul_f64 v[124:125], v[38:39], s[24:25]
	v_add_f64 v[110:111], v[110:111], v[116:117]
	v_fma_f64 v[116:117], v[44:45], s[0:1], -v[132:133]
	v_mul_f64 v[38:39], v[38:39], s[12:13]
	v_fma_f64 v[62:63], v[160:161], s[30:31], v[114:115]
	v_add_f64 v[126:127], v[126:127], v[158:159]
	v_add_f64 v[42:43], v[108:109], v[94:95]
	v_fma_f64 v[94:95], v[160:161], s[16:17], -v[102:103]
	v_fma_f64 v[102:103], v[160:161], s[16:17], v[102:103]
	v_fma_f64 v[132:133], v[44:45], s[0:1], v[132:133]
	v_fma_f64 v[52:53], v[160:161], s[30:31], -v[114:115]
	v_add_f64 v[104:105], v[130:131], v[104:105]
	v_fma_f64 v[56:57], v[36:37], s[22:23], -v[124:125]
	v_fma_f64 v[124:125], v[36:37], s[22:23], v[124:125]
	v_add_f64 v[60:61], v[116:117], v[60:61]
	v_fma_f64 v[116:117], v[112:113], s[6:7], -v[96:97]
	v_fma_f64 v[96:97], v[112:113], s[6:7], v[96:97]
	v_fma_f64 v[130:131], v[36:37], s[6:7], v[38:39]
	v_fma_f64 v[36:37], v[36:37], s[6:7], -v[38:39]
	v_add_f64 v[62:63], v[62:63], v[126:127]
	v_fma_f64 v[126:127], v[80:81], s[26:27], v[152:153]
	v_add_f64 v[110:111], v[132:133], v[110:111]
	v_mul_f64 v[132:133], v[164:165], s[20:21]
	v_mul_f64 v[38:39], v[30:31], s[14:15]
	v_add_f64 v[42:43], v[52:53], v[42:43]
	v_mul_f64 v[52:53], v[50:51], s[18:19]
	v_mul_f64 v[112:113], v[82:83], s[24:25]
	v_add_f64 v[56:57], v[56:57], v[92:93]
	v_fma_f64 v[92:93], v[162:163], s[30:31], -v[58:59]
	v_add_f64 v[54:55], v[124:125], v[118:119]
	v_fma_f64 v[58:59], v[162:163], s[30:31], v[58:59]
	v_add_f64 v[84:85], v[116:117], v[84:85]
	v_add_f64 v[96:97], v[96:97], v[120:121]
	;; [unrolled: 1-line block ×3, first 2 shown]
	v_mul_f64 v[88:89], v[74:75], s[18:19]
	v_add_f64 v[62:63], v[126:127], v[62:63]
	v_mul_f64 v[126:127], v[30:31], s[24:25]
	v_add_f64 v[86:87], v[130:131], v[86:87]
	v_fma_f64 v[130:131], v[44:45], s[26:27], v[154:155]
	v_fma_f64 v[108:109], v[162:163], s[16:17], v[132:133]
	v_fma_f64 v[120:121], v[162:163], s[16:17], -v[132:133]
	v_fma_f64 v[124:125], v[28:29], s[6:7], v[38:39]
	v_fma_f64 v[132:133], v[28:29], s[6:7], -v[38:39]
	v_fma_f64 v[38:39], v[48:49], s[16:17], -v[52:53]
	;; [unrolled: 1-line block ×3, first 2 shown]
	v_fma_f64 v[112:113], v[78:79], s[22:23], v[112:113]
	v_add_f64 v[56:57], v[92:93], v[56:57]
	v_fma_f64 v[92:93], v[44:45], s[26:27], -v[154:155]
	v_add_f64 v[54:55], v[58:59], v[54:55]
	v_mul_f64 v[58:59], v[74:75], s[28:29]
	v_fma_f64 v[74:75], v[80:81], s[22:23], -v[76:77]
	v_add_f64 v[84:85], v[94:95], v[84:85]
	v_fma_f64 v[76:77], v[80:81], s[22:23], v[76:77]
	v_add_f64 v[96:97], v[102:103], v[96:97]
	v_fma_f64 v[94:95], v[44:45], s[22:23], v[46:47]
	v_mul_f64 v[102:103], v[30:31], s[28:29]
	v_fma_f64 v[44:45], v[44:45], s[22:23], -v[46:47]
	v_mul_f64 v[46:47], v[30:31], s[4:5]
	v_mul_f64 v[30:31], v[30:31], s[34:35]
	v_fma_f64 v[114:115], v[28:29], s[22:23], v[126:127]
	v_fma_f64 v[118:119], v[28:29], s[22:23], -v[126:127]
	v_fma_f64 v[126:127], v[80:81], s[26:27], -v[152:153]
	v_add_f64 v[86:87], v[108:109], v[86:87]
	v_mul_f64 v[108:109], v[50:51], s[28:29]
	v_mul_f64 v[50:51], v[50:51], s[12:13]
	v_add_f64 v[36:37], v[120:121], v[36:37]
	v_mul_f64 v[80:81], v[82:83], s[14:15]
	v_fma_f64 v[120:121], v[72:73], s[16:17], v[88:89]
	v_fma_f64 v[88:89], v[72:73], s[16:17], -v[88:89]
	v_add_f64 v[56:57], v[92:93], v[56:57]
	v_add_f64 v[54:55], v[130:131], v[54:55]
	v_fma_f64 v[130:131], v[48:49], s[16:17], v[52:53]
	v_add_f64 v[52:53], v[122:123], v[104:105]
	v_add_f64 v[74:75], v[74:75], v[84:85]
	v_fma_f64 v[84:85], v[72:73], s[26:27], -v[58:59]
	v_fma_f64 v[58:59], v[72:73], s[26:27], v[58:59]
	v_add_f64 v[76:77], v[76:77], v[96:97]
	v_mul_f64 v[92:93], v[82:83], s[28:29]
	v_fma_f64 v[104:105], v[28:29], s[30:31], -v[30:31]
	v_fma_f64 v[158:159], v[28:29], s[30:31], v[30:31]
	v_add_f64 v[30:31], v[114:115], v[90:91]
	v_add_f64 v[42:43], v[126:127], v[42:43]
	v_mul_f64 v[126:127], v[82:83], s[4:5]
	v_add_f64 v[86:87], v[94:95], v[86:87]
	v_fma_f64 v[94:95], v[48:49], s[26:27], v[108:109]
	v_mul_f64 v[82:83], v[82:83], s[34:35]
	v_fma_f64 v[72:73], v[48:49], s[6:7], v[50:51]
	v_fma_f64 v[50:51], v[48:49], s[6:7], -v[50:51]
	v_fma_f64 v[48:49], v[48:49], s[26:27], -v[108:109]
	v_add_f64 v[36:37], v[44:45], v[36:37]
	v_fma_f64 v[44:45], v[28:29], s[26:27], -v[102:103]
	v_add_f64 v[122:123], v[130:131], v[54:55]
	v_fma_f64 v[108:109], v[28:29], s[26:27], v[102:103]
	v_fma_f64 v[102:103], v[28:29], s[0:1], -v[46:47]
	v_add_f64 v[74:75], v[84:85], v[74:75]
	v_fma_f64 v[96:97], v[78:79], s[6:7], -v[80:81]
	v_add_f64 v[76:77], v[58:59], v[76:77]
	v_fma_f64 v[152:153], v[78:79], s[26:27], -v[92:93]
	v_fma_f64 v[92:93], v[78:79], s[26:27], v[92:93]
	v_fma_f64 v[80:81], v[78:79], s[6:7], v[80:81]
	;; [unrolled: 1-line block ×3, first 2 shown]
	v_add_f64 v[120:121], v[120:121], v[62:63]
	v_add_f64 v[154:155], v[38:39], v[56:57]
	;; [unrolled: 1-line block ×3, first 2 shown]
	v_fma_f64 v[84:85], v[78:79], s[0:1], v[126:127]
	v_fma_f64 v[126:127], v[78:79], s[0:1], -v[126:127]
	v_add_f64 v[86:87], v[94:95], v[86:87]
	v_fma_f64 v[94:95], v[78:79], s[30:31], v[82:83]
	v_add_f64 v[72:73], v[72:73], v[110:111]
	v_add_f64 v[110:111], v[50:51], v[60:61]
	v_fma_f64 v[78:79], v[78:79], s[30:31], -v[82:83]
	v_add_f64 v[82:83], v[48:49], v[36:37]
	v_add_f64 v[58:59], v[156:157], v[168:169]
	;; [unrolled: 1-line block ×8, first 2 shown]
	s_clause 0x1
	buffer_load_dword v76, off, s[48:51], 0 offset:884
	buffer_load_dword v77, off, s[48:51], 0 offset:888
	v_add_f64 v[36:37], v[112:113], v[70:71]
	v_add_f64 v[40:41], v[80:81], v[106:107]
	;; [unrolled: 1-line block ×14, first 2 shown]
	s_waitcnt vmcnt(0)
	v_lshl_add_u32 v76, v77, 4, v76
	ds_write_b128 v76, v[56:59]
	ds_write_b128 v76, v[52:55] offset:16
	ds_write_b128 v76, v[48:51] offset:32
	;; [unrolled: 1-line block ×12, first 2 shown]
.LBB0_13:
	s_or_b32 exec_lo, exec_lo, s33
	s_waitcnt lgkmcnt(0)
	s_barrier
	buffer_gl0_inv
	ds_read_b128 v[24:27], v174 offset:5200
	s_clause 0x3
	buffer_load_dword v30, off, s[48:51], 0 offset:372
	buffer_load_dword v31, off, s[48:51], 0 offset:376
	buffer_load_dword v32, off, s[48:51], 0 offset:380
	buffer_load_dword v33, off, s[48:51], 0 offset:384
	s_mov_b32 s6, 0x134454ff
	s_mov_b32 s7, 0xbfee6f0e
	;; [unrolled: 1-line block ×10, first 2 shown]
	s_waitcnt vmcnt(0) lgkmcnt(0)
	v_mul_f64 v[28:29], v[32:33], v[26:27]
	v_fma_f64 v[36:37], v[30:31], v[24:25], v[28:29]
	v_mul_f64 v[24:25], v[32:33], v[24:25]
	v_fma_f64 v[40:41], v[30:31], v[26:27], -v[24:25]
	ds_read_b128 v[24:27], v174 offset:10400
	s_clause 0x3
	buffer_load_dword v30, off, s[48:51], 0 offset:356
	buffer_load_dword v31, off, s[48:51], 0 offset:360
	;; [unrolled: 1-line block ×4, first 2 shown]
	s_waitcnt vmcnt(0) lgkmcnt(0)
	v_mul_f64 v[28:29], v[32:33], v[26:27]
	v_fma_f64 v[38:39], v[30:31], v[24:25], v[28:29]
	v_mul_f64 v[24:25], v[32:33], v[24:25]
	v_add_f64 v[130:131], v[36:37], -v[38:39]
	v_fma_f64 v[42:43], v[30:31], v[26:27], -v[24:25]
	ds_read_b128 v[24:27], v174 offset:15600
	s_clause 0x3
	buffer_load_dword v30, off, s[48:51], 0 offset:340
	buffer_load_dword v31, off, s[48:51], 0 offset:344
	;; [unrolled: 1-line block ×4, first 2 shown]
	s_waitcnt vmcnt(0) lgkmcnt(0)
	v_mul_f64 v[28:29], v[32:33], v[26:27]
	v_fma_f64 v[44:45], v[30:31], v[24:25], v[28:29]
	v_mul_f64 v[24:25], v[32:33], v[24:25]
	v_add_f64 v[124:125], v[38:39], -v[44:45]
	v_fma_f64 v[46:47], v[30:31], v[26:27], -v[24:25]
	ds_read_b128 v[24:27], v174 offset:20800
	s_clause 0x3
	buffer_load_dword v30, off, s[48:51], 0 offset:324
	buffer_load_dword v31, off, s[48:51], 0 offset:328
	;; [unrolled: 1-line block ×4, first 2 shown]
	v_add_f64 v[120:121], v[42:43], -v[46:47]
	s_waitcnt vmcnt(0) lgkmcnt(0)
	v_mul_f64 v[28:29], v[32:33], v[26:27]
	v_fma_f64 v[48:49], v[30:31], v[24:25], v[28:29]
	v_mul_f64 v[24:25], v[32:33], v[24:25]
	v_add_f64 v[126:127], v[36:37], -v[48:49]
	v_fma_f64 v[50:51], v[30:31], v[26:27], -v[24:25]
	ds_read_b128 v[24:27], v174 offset:6240
	s_clause 0x3
	buffer_load_dword v30, off, s[48:51], 0 offset:436
	buffer_load_dword v31, off, s[48:51], 0 offset:440
	;; [unrolled: 1-line block ×4, first 2 shown]
	v_add_f64 v[122:123], v[40:41], -v[50:51]
	s_waitcnt vmcnt(0) lgkmcnt(0)
	v_mul_f64 v[28:29], v[32:33], v[26:27]
	v_fma_f64 v[104:105], v[30:31], v[24:25], v[28:29]
	v_mul_f64 v[24:25], v[32:33], v[24:25]
	v_fma_f64 v[100:101], v[30:31], v[26:27], -v[24:25]
	ds_read_b128 v[24:27], v174 offset:11440
	s_clause 0x3
	buffer_load_dword v30, off, s[48:51], 0 offset:420
	buffer_load_dword v31, off, s[48:51], 0 offset:424
	buffer_load_dword v32, off, s[48:51], 0 offset:428
	buffer_load_dword v33, off, s[48:51], 0 offset:432
	s_waitcnt vmcnt(0) lgkmcnt(0)
	v_mul_f64 v[28:29], v[32:33], v[26:27]
	v_fma_f64 v[110:111], v[30:31], v[24:25], v[28:29]
	v_mul_f64 v[24:25], v[32:33], v[24:25]
	v_fma_f64 v[102:103], v[30:31], v[26:27], -v[24:25]
	ds_read_b128 v[24:27], v174 offset:16640
	s_clause 0x3
	buffer_load_dword v30, off, s[48:51], 0 offset:404
	buffer_load_dword v31, off, s[48:51], 0 offset:408
	buffer_load_dword v32, off, s[48:51], 0 offset:412
	buffer_load_dword v33, off, s[48:51], 0 offset:416
	s_waitcnt vmcnt(0) lgkmcnt(0)
	v_mul_f64 v[28:29], v[32:33], v[26:27]
	v_fma_f64 v[108:109], v[30:31], v[24:25], v[28:29]
	v_mul_f64 v[24:25], v[32:33], v[24:25]
	v_fma_f64 v[106:107], v[30:31], v[26:27], -v[24:25]
	ds_read_b128 v[24:27], v174 offset:21840
	s_clause 0x3
	buffer_load_dword v30, off, s[48:51], 0 offset:388
	buffer_load_dword v31, off, s[48:51], 0 offset:392
	buffer_load_dword v32, off, s[48:51], 0 offset:396
	buffer_load_dword v33, off, s[48:51], 0 offset:400
	s_waitcnt vmcnt(0) lgkmcnt(0)
	v_mul_f64 v[28:29], v[32:33], v[26:27]
	v_fma_f64 v[114:115], v[30:31], v[24:25], v[28:29]
	v_mul_f64 v[24:25], v[32:33], v[24:25]
	v_fma_f64 v[112:113], v[30:31], v[26:27], -v[24:25]
	ds_read_b128 v[24:27], v174 offset:7280
	s_clause 0x3
	buffer_load_dword v30, off, s[48:51], 0 offset:500
	buffer_load_dword v31, off, s[48:51], 0 offset:504
	buffer_load_dword v32, off, s[48:51], 0 offset:508
	buffer_load_dword v33, off, s[48:51], 0 offset:512
	s_waitcnt vmcnt(0) lgkmcnt(0)
	v_mul_f64 v[28:29], v[32:33], v[26:27]
	v_fma_f64 v[88:89], v[30:31], v[24:25], v[28:29]
	v_mul_f64 v[24:25], v[32:33], v[24:25]
	v_fma_f64 v[84:85], v[30:31], v[26:27], -v[24:25]
	ds_read_b128 v[24:27], v174 offset:12480
	s_clause 0x3
	buffer_load_dword v30, off, s[48:51], 0 offset:484
	buffer_load_dword v31, off, s[48:51], 0 offset:488
	buffer_load_dword v32, off, s[48:51], 0 offset:492
	buffer_load_dword v33, off, s[48:51], 0 offset:496
	s_waitcnt vmcnt(0) lgkmcnt(0)
	v_mul_f64 v[28:29], v[32:33], v[26:27]
	v_fma_f64 v[94:95], v[30:31], v[24:25], v[28:29]
	v_mul_f64 v[24:25], v[32:33], v[24:25]
	v_fma_f64 v[86:87], v[30:31], v[26:27], -v[24:25]
	ds_read_b128 v[24:27], v174 offset:17680
	s_clause 0x3
	buffer_load_dword v30, off, s[48:51], 0 offset:468
	buffer_load_dword v31, off, s[48:51], 0 offset:472
	buffer_load_dword v32, off, s[48:51], 0 offset:476
	buffer_load_dword v33, off, s[48:51], 0 offset:480
	s_waitcnt vmcnt(0) lgkmcnt(0)
	v_mul_f64 v[28:29], v[32:33], v[26:27]
	v_fma_f64 v[92:93], v[30:31], v[24:25], v[28:29]
	v_mul_f64 v[24:25], v[32:33], v[24:25]
	v_fma_f64 v[90:91], v[30:31], v[26:27], -v[24:25]
	ds_read_b128 v[24:27], v174 offset:22880
	s_clause 0x3
	buffer_load_dword v30, off, s[48:51], 0 offset:452
	buffer_load_dword v31, off, s[48:51], 0 offset:456
	buffer_load_dword v32, off, s[48:51], 0 offset:460
	buffer_load_dword v33, off, s[48:51], 0 offset:464
	s_waitcnt vmcnt(0) lgkmcnt(0)
	v_mul_f64 v[28:29], v[32:33], v[26:27]
	v_fma_f64 v[98:99], v[30:31], v[24:25], v[28:29]
	v_mul_f64 v[24:25], v[32:33], v[24:25]
	v_fma_f64 v[96:97], v[30:31], v[26:27], -v[24:25]
	ds_read_b128 v[24:27], v174 offset:8320
	s_clause 0x3
	buffer_load_dword v30, off, s[48:51], 0 offset:564
	buffer_load_dword v31, off, s[48:51], 0 offset:568
	buffer_load_dword v32, off, s[48:51], 0 offset:572
	buffer_load_dword v33, off, s[48:51], 0 offset:576
	s_waitcnt vmcnt(0) lgkmcnt(0)
	v_mul_f64 v[28:29], v[32:33], v[26:27]
	v_fma_f64 v[70:71], v[30:31], v[24:25], v[28:29]
	v_mul_f64 v[24:25], v[32:33], v[24:25]
	v_fma_f64 v[68:69], v[30:31], v[26:27], -v[24:25]
	ds_read_b128 v[24:27], v174 offset:13520
	s_clause 0x3
	buffer_load_dword v30, off, s[48:51], 0 offset:548
	buffer_load_dword v31, off, s[48:51], 0 offset:552
	buffer_load_dword v32, off, s[48:51], 0 offset:556
	buffer_load_dword v33, off, s[48:51], 0 offset:560
	s_waitcnt vmcnt(0) lgkmcnt(0)
	v_mul_f64 v[28:29], v[32:33], v[26:27]
	v_fma_f64 v[74:75], v[30:31], v[24:25], v[28:29]
	v_mul_f64 v[24:25], v[32:33], v[24:25]
	v_fma_f64 v[76:77], v[30:31], v[26:27], -v[24:25]
	ds_read_b128 v[24:27], v174 offset:18720
	s_clause 0x3
	buffer_load_dword v30, off, s[48:51], 0 offset:532
	buffer_load_dword v31, off, s[48:51], 0 offset:536
	buffer_load_dword v32, off, s[48:51], 0 offset:540
	buffer_load_dword v33, off, s[48:51], 0 offset:544
	s_waitcnt vmcnt(0) lgkmcnt(0)
	v_mul_f64 v[28:29], v[32:33], v[26:27]
	v_fma_f64 v[78:79], v[30:31], v[24:25], v[28:29]
	v_mul_f64 v[24:25], v[32:33], v[24:25]
	v_fma_f64 v[72:73], v[30:31], v[26:27], -v[24:25]
	ds_read_b128 v[24:27], v174 offset:23920
	s_clause 0x3
	buffer_load_dword v30, off, s[48:51], 0 offset:516
	buffer_load_dword v31, off, s[48:51], 0 offset:520
	buffer_load_dword v32, off, s[48:51], 0 offset:524
	buffer_load_dword v33, off, s[48:51], 0 offset:528
	s_waitcnt vmcnt(0) lgkmcnt(0)
	v_mul_f64 v[28:29], v[32:33], v[26:27]
	v_fma_f64 v[80:81], v[30:31], v[24:25], v[28:29]
	v_mul_f64 v[24:25], v[32:33], v[24:25]
	v_fma_f64 v[82:83], v[30:31], v[26:27], -v[24:25]
	ds_read_b128 v[24:27], v174 offset:9360
	s_clause 0x3
	buffer_load_dword v30, off, s[48:51], 0 offset:628
	buffer_load_dword v31, off, s[48:51], 0 offset:632
	buffer_load_dword v32, off, s[48:51], 0 offset:636
	buffer_load_dword v33, off, s[48:51], 0 offset:640
	s_waitcnt vmcnt(0) lgkmcnt(0)
	v_mul_f64 v[28:29], v[32:33], v[26:27]
	v_fma_f64 v[56:57], v[30:31], v[24:25], v[28:29]
	v_mul_f64 v[24:25], v[32:33], v[24:25]
	v_fma_f64 v[52:53], v[30:31], v[26:27], -v[24:25]
	ds_read_b128 v[24:27], v174 offset:14560
	s_clause 0x3
	buffer_load_dword v30, off, s[48:51], 0 offset:612
	buffer_load_dword v31, off, s[48:51], 0 offset:616
	buffer_load_dword v32, off, s[48:51], 0 offset:620
	buffer_load_dword v33, off, s[48:51], 0 offset:624
	s_waitcnt vmcnt(0) lgkmcnt(0)
	v_mul_f64 v[28:29], v[32:33], v[26:27]
	v_fma_f64 v[62:63], v[30:31], v[24:25], v[28:29]
	v_mul_f64 v[24:25], v[32:33], v[24:25]
	v_fma_f64 v[54:55], v[30:31], v[26:27], -v[24:25]
	ds_read_b128 v[24:27], v174 offset:19760
	s_clause 0x3
	buffer_load_dword v30, off, s[48:51], 0 offset:596
	buffer_load_dword v31, off, s[48:51], 0 offset:600
	buffer_load_dword v32, off, s[48:51], 0 offset:604
	buffer_load_dword v33, off, s[48:51], 0 offset:608
	s_waitcnt vmcnt(0) lgkmcnt(0)
	v_mul_f64 v[28:29], v[32:33], v[26:27]
	v_fma_f64 v[60:61], v[30:31], v[24:25], v[28:29]
	v_mul_f64 v[24:25], v[32:33], v[24:25]
	v_fma_f64 v[58:59], v[30:31], v[26:27], -v[24:25]
	ds_read_b128 v[24:27], v174 offset:24960
	s_clause 0x3
	buffer_load_dword v30, off, s[48:51], 0 offset:580
	buffer_load_dword v31, off, s[48:51], 0 offset:584
	buffer_load_dword v32, off, s[48:51], 0 offset:588
	buffer_load_dword v33, off, s[48:51], 0 offset:592
	s_waitcnt vmcnt(0) lgkmcnt(0)
	v_mul_f64 v[28:29], v[32:33], v[26:27]
	v_fma_f64 v[66:67], v[30:31], v[24:25], v[28:29]
	v_mul_f64 v[24:25], v[32:33], v[24:25]
	ds_read_b128 v[32:35], v174
	v_fma_f64 v[64:65], v[30:31], v[26:27], -v[24:25]
	v_add_f64 v[24:25], v[38:39], -v[36:37]
	v_add_f64 v[26:27], v[44:45], -v[48:49]
	v_add_f64 v[28:29], v[24:25], v[26:27]
	v_add_f64 v[24:25], v[42:43], -v[40:41]
	v_add_f64 v[26:27], v[46:47], -v[50:51]
	v_add_f64 v[30:31], v[24:25], v[26:27]
	v_add_f64 v[24:25], v[36:37], v[48:49]
	s_waitcnt lgkmcnt(0)
	v_fma_f64 v[116:117], v[24:25], -0.5, v[32:33]
	v_add_f64 v[24:25], v[40:41], v[50:51]
	v_fma_f64 v[118:119], v[24:25], -0.5, v[34:35]
	v_fma_f64 v[24:25], v[120:121], s[12:13], v[116:117]
	v_fma_f64 v[116:117], v[120:121], s[6:7], v[116:117]
	;; [unrolled: 1-line block ×10, first 2 shown]
	v_add_f64 v[116:117], v[38:39], v[44:45]
	v_fma_f64 v[26:27], v[30:31], s[14:15], v[26:27]
	v_fma_f64 v[30:31], v[30:31], s[14:15], v[118:119]
	v_add_f64 v[118:119], v[42:43], v[46:47]
	v_fma_f64 v[116:117], v[116:117], -0.5, v[32:33]
	v_add_f64 v[32:33], v[32:33], v[36:37]
	v_fma_f64 v[118:119], v[118:119], -0.5, v[34:35]
	v_add_f64 v[34:35], v[34:35], v[40:41]
	v_fma_f64 v[132:133], v[122:123], s[6:7], v[116:117]
	v_add_f64 v[32:33], v[32:33], v[38:39]
	v_fma_f64 v[116:117], v[122:123], s[12:13], v[116:117]
	v_add_f64 v[34:35], v[34:35], v[42:43]
	v_add_f64 v[32:33], v[32:33], v[44:45]
	v_add_f64 v[44:45], v[48:49], -v[44:45]
	v_add_f64 v[34:35], v[34:35], v[46:47]
	v_add_f64 v[36:37], v[32:33], v[48:49]
	v_add_f64 v[32:33], v[40:41], -v[42:43]
	v_fma_f64 v[40:41], v[126:127], s[12:13], v[118:119]
	v_fma_f64 v[42:43], v[126:127], s[6:7], v[118:119]
	v_add_f64 v[44:45], v[130:131], v[44:45]
	v_fma_f64 v[48:49], v[120:121], s[4:5], v[116:117]
	v_add_f64 v[38:39], v[34:35], v[50:51]
	v_add_f64 v[34:35], v[50:51], -v[46:47]
	v_fma_f64 v[46:47], v[120:121], s[0:1], v[132:133]
	v_fma_f64 v[50:51], v[124:125], s[0:1], v[42:43]
	v_add_f64 v[34:35], v[32:33], v[34:35]
	v_fma_f64 v[32:33], v[124:125], s[4:5], v[40:41]
	v_fma_f64 v[40:41], v[44:45], s[14:15], v[46:47]
	;; [unrolled: 1-line block ×5, first 2 shown]
	ds_read_b128 v[44:47], v174 offset:4160
	ds_read_b128 v[116:119], v174 offset:1040
	;; [unrolled: 1-line block ×4, first 2 shown]
	s_waitcnt lgkmcnt(0)
	s_barrier
	buffer_gl0_inv
	buffer_load_dword v124, off, s[48:51], 0 offset:644 ; 4-byte Folded Reload
	s_waitcnt vmcnt(0)
	ds_write_b128 v124, v[36:39]
	ds_write_b128 v124, v[40:43] offset:208
	ds_write_b128 v124, v[24:27] offset:416
	;; [unrolled: 1-line block ×4, first 2 shown]
	v_add_f64 v[24:25], v[110:111], -v[104:105]
	v_add_f64 v[26:27], v[108:109], -v[114:115]
	;; [unrolled: 1-line block ×6, first 2 shown]
	v_add_f64 v[28:29], v[24:25], v[26:27]
	v_add_f64 v[24:25], v[102:103], -v[100:101]
	v_add_f64 v[26:27], v[106:107], -v[112:113]
	v_add_f64 v[30:31], v[24:25], v[26:27]
	v_add_f64 v[24:25], v[104:105], v[114:115]
	;; [unrolled: 1-line block ×3, first 2 shown]
	v_fma_f64 v[32:33], v[24:25], -0.5, v[116:117]
	v_fma_f64 v[38:39], v[26:27], -0.5, v[118:119]
	v_fma_f64 v[24:25], v[36:37], s[12:13], v[32:33]
	v_fma_f64 v[26:27], v[40:41], s[6:7], v[38:39]
	v_fma_f64 v[32:33], v[36:37], s[6:7], v[32:33]
	v_fma_f64 v[38:39], v[40:41], s[12:13], v[38:39]
	v_fma_f64 v[24:25], v[34:35], s[0:1], v[24:25]
	v_fma_f64 v[26:27], v[42:43], s[4:5], v[26:27]
	v_fma_f64 v[32:33], v[34:35], s[4:5], v[32:33]
	v_fma_f64 v[38:39], v[42:43], s[0:1], v[38:39]
	v_fma_f64 v[24:25], v[28:29], s[14:15], v[24:25]
	v_fma_f64 v[26:27], v[30:31], s[14:15], v[26:27]
	v_fma_f64 v[28:29], v[28:29], s[14:15], v[32:33]
	v_fma_f64 v[30:31], v[30:31], s[14:15], v[38:39]
	v_add_f64 v[32:33], v[110:111], v[108:109]
	v_add_f64 v[38:39], v[102:103], v[106:107]
	v_fma_f64 v[32:33], v[32:33], -0.5, v[116:117]
	v_fma_f64 v[38:39], v[38:39], -0.5, v[118:119]
	v_add_f64 v[116:117], v[116:117], v[104:105]
	v_add_f64 v[118:119], v[118:119], v[100:101]
	v_add_f64 v[104:105], v[104:105], -v[110:111]
	v_add_f64 v[100:101], v[100:101], -v[102:103]
	v_fma_f64 v[124:125], v[34:35], s[12:13], v[32:33]
	v_add_f64 v[116:117], v[116:117], v[110:111]
	v_fma_f64 v[110:111], v[34:35], s[6:7], v[32:33]
	v_add_f64 v[32:33], v[118:119], v[102:103]
	v_add_f64 v[102:103], v[112:113], -v[106:107]
	v_add_f64 v[34:35], v[116:117], v[108:109]
	v_add_f64 v[108:109], v[114:115], -v[108:109]
	v_add_f64 v[116:117], v[32:33], v[106:107]
	v_fma_f64 v[106:107], v[42:43], s[12:13], v[38:39]
	v_fma_f64 v[38:39], v[42:43], s[6:7], v[38:39]
	v_add_f64 v[100:101], v[100:101], v[102:103]
	v_add_f64 v[32:33], v[34:35], v[114:115]
	;; [unrolled: 1-line block ×3, first 2 shown]
	v_fma_f64 v[104:105], v[36:37], s[0:1], v[110:111]
	v_fma_f64 v[108:109], v[36:37], s[4:5], v[124:125]
	v_fma_f64 v[102:103], v[40:41], s[4:5], v[106:107]
	v_fma_f64 v[106:107], v[40:41], s[0:1], v[38:39]
	v_add_f64 v[34:35], v[116:117], v[112:113]
	v_fma_f64 v[36:37], v[42:43], s[14:15], v[104:105]
	v_fma_f64 v[40:41], v[42:43], s[14:15], v[108:109]
	;; [unrolled: 1-line block ×4, first 2 shown]
	buffer_load_dword v100, off, s[48:51], 0 offset:660 ; 4-byte Folded Reload
	v_add_f64 v[102:103], v[122:123], v[84:85]
	s_waitcnt vmcnt(0)
	ds_write_b128 v100, v[32:35]
	ds_write_b128 v100, v[36:39] offset:208
	ds_write_b128 v100, v[24:27] offset:416
	;; [unrolled: 1-line block ×4, first 2 shown]
	v_add_f64 v[24:25], v[94:95], -v[88:89]
	v_add_f64 v[26:27], v[92:93], -v[98:99]
	;; [unrolled: 1-line block ×6, first 2 shown]
	v_add_f64 v[100:101], v[120:121], v[88:89]
	v_add_f64 v[28:29], v[24:25], v[26:27]
	v_add_f64 v[24:25], v[86:87], -v[84:85]
	v_add_f64 v[26:27], v[90:91], -v[96:97]
	v_add_f64 v[100:101], v[100:101], v[94:95]
	v_add_f64 v[30:31], v[24:25], v[26:27]
	;; [unrolled: 1-line block ×4, first 2 shown]
	v_add_f64 v[88:89], v[88:89], -v[94:95]
	v_add_f64 v[84:85], v[84:85], -v[86:87]
	v_fma_f64 v[32:33], v[24:25], -0.5, v[120:121]
	v_fma_f64 v[38:39], v[26:27], -0.5, v[122:123]
	v_fma_f64 v[24:25], v[36:37], s[12:13], v[32:33]
	v_fma_f64 v[32:33], v[36:37], s[6:7], v[32:33]
	;; [unrolled: 1-line block ×10, first 2 shown]
	v_add_f64 v[32:33], v[94:95], v[92:93]
	v_fma_f64 v[26:27], v[30:31], s[14:15], v[26:27]
	v_fma_f64 v[30:31], v[30:31], s[14:15], v[38:39]
	v_add_f64 v[38:39], v[86:87], v[90:91]
	v_fma_f64 v[32:33], v[32:33], -0.5, v[120:121]
	v_fma_f64 v[38:39], v[38:39], -0.5, v[122:123]
	v_fma_f64 v[94:95], v[34:35], s[6:7], v[32:33]
	v_fma_f64 v[104:105], v[34:35], s[12:13], v[32:33]
	v_add_f64 v[32:33], v[102:103], v[86:87]
	v_add_f64 v[34:35], v[100:101], v[92:93]
	v_add_f64 v[92:93], v[98:99], -v[92:93]
	v_add_f64 v[86:87], v[96:97], -v[90:91]
	v_add_f64 v[100:101], v[32:33], v[90:91]
	v_fma_f64 v[90:91], v[42:43], s[12:13], v[38:39]
	v_fma_f64 v[38:39], v[42:43], s[6:7], v[38:39]
	v_add_f64 v[42:43], v[88:89], v[92:93]
	v_fma_f64 v[88:89], v[36:37], s[0:1], v[94:95]
	v_fma_f64 v[92:93], v[36:37], s[4:5], v[104:105]
	v_add_f64 v[84:85], v[84:85], v[86:87]
	v_add_f64 v[32:33], v[34:35], v[98:99]
	;; [unrolled: 1-line block ×3, first 2 shown]
	v_fma_f64 v[86:87], v[40:41], s[4:5], v[90:91]
	v_fma_f64 v[90:91], v[40:41], s[0:1], v[38:39]
	;; [unrolled: 1-line block ×6, first 2 shown]
	buffer_load_dword v84, off, s[48:51], 0 offset:656 ; 4-byte Folded Reload
	s_waitcnt vmcnt(0)
	ds_write_b128 v84, v[32:35]
	ds_write_b128 v84, v[36:39] offset:208
	ds_write_b128 v84, v[24:27] offset:416
	;; [unrolled: 1-line block ×4, first 2 shown]
	v_add_f64 v[24:25], v[74:75], -v[70:71]
	v_add_f64 v[26:27], v[78:79], -v[80:81]
	v_add_f64 v[36:37], v[76:77], -v[72:73]
	v_add_f64 v[40:41], v[74:75], -v[78:79]
	v_add_f64 v[38:39], v[68:69], -v[82:83]
	v_add_f64 v[42:43], v[70:71], -v[80:81]
	v_add_f64 v[28:29], v[24:25], v[26:27]
	v_add_f64 v[24:25], v[76:77], -v[68:69]
	v_add_f64 v[26:27], v[72:73], -v[82:83]
	v_add_f64 v[30:31], v[24:25], v[26:27]
	v_add_f64 v[24:25], v[70:71], v[80:81]
	v_fma_f64 v[32:33], v[24:25], -0.5, v[48:49]
	v_add_f64 v[24:25], v[68:69], v[82:83]
	v_fma_f64 v[34:35], v[24:25], -0.5, v[50:51]
	v_fma_f64 v[24:25], v[36:37], s[12:13], v[32:33]
	v_fma_f64 v[32:33], v[36:37], s[6:7], v[32:33]
	;; [unrolled: 1-line block ×10, first 2 shown]
	v_add_f64 v[32:33], v[74:75], v[78:79]
	v_fma_f64 v[26:27], v[30:31], s[14:15], v[26:27]
	v_fma_f64 v[30:31], v[30:31], s[14:15], v[34:35]
	v_add_f64 v[34:35], v[50:51], v[68:69]
	v_fma_f64 v[84:85], v[32:33], -0.5, v[48:49]
	v_add_f64 v[32:33], v[76:77], v[72:73]
	v_add_f64 v[34:35], v[34:35], v[76:77]
	v_fma_f64 v[86:87], v[32:33], -0.5, v[50:51]
	v_add_f64 v[32:33], v[48:49], v[70:71]
	v_add_f64 v[48:49], v[70:71], -v[74:75]
	v_add_f64 v[50:51], v[68:69], -v[76:77]
	v_add_f64 v[68:69], v[80:81], -v[78:79]
	v_add_f64 v[70:71], v[82:83], -v[72:73]
	v_add_f64 v[34:35], v[34:35], v[72:73]
	v_fma_f64 v[72:73], v[38:39], s[6:7], v[84:85]
	v_fma_f64 v[38:39], v[38:39], s[12:13], v[84:85]
	v_add_f64 v[32:33], v[32:33], v[74:75]
	v_fma_f64 v[74:75], v[42:43], s[12:13], v[86:87]
	v_fma_f64 v[42:43], v[42:43], s[6:7], v[86:87]
	v_add_f64 v[48:49], v[48:49], v[68:69]
	v_add_f64 v[50:51], v[50:51], v[70:71]
	;; [unrolled: 1-line block ×3, first 2 shown]
	v_fma_f64 v[68:69], v[36:37], s[0:1], v[72:73]
	v_fma_f64 v[70:71], v[36:37], s[4:5], v[38:39]
	v_add_f64 v[32:33], v[32:33], v[78:79]
	v_fma_f64 v[38:39], v[40:41], s[4:5], v[74:75]
	v_fma_f64 v[42:43], v[40:41], s[0:1], v[42:43]
	;; [unrolled: 1-line block ×4, first 2 shown]
	buffer_load_dword v48, off, s[48:51], 0 offset:652 ; 4-byte Folded Reload
	v_add_f64 v[32:33], v[32:33], v[80:81]
	v_fma_f64 v[38:39], v[50:51], s[14:15], v[38:39]
	v_fma_f64 v[42:43], v[50:51], s[14:15], v[42:43]
	s_waitcnt vmcnt(0)
	ds_write_b128 v48, v[32:35]
	ds_write_b128 v48, v[36:39] offset:208
	ds_write_b128 v48, v[24:27] offset:416
	;; [unrolled: 1-line block ×4, first 2 shown]
	v_add_f64 v[24:25], v[62:63], -v[56:57]
	v_add_f64 v[26:27], v[60:61], -v[66:67]
	;; [unrolled: 1-line block ×7, first 2 shown]
	v_add_f64 v[28:29], v[24:25], v[26:27]
	v_add_f64 v[24:25], v[54:55], -v[52:53]
	v_add_f64 v[26:27], v[58:59], -v[64:65]
	v_add_f64 v[30:31], v[24:25], v[26:27]
	v_add_f64 v[24:25], v[56:57], v[66:67]
	;; [unrolled: 1-line block ×3, first 2 shown]
	v_fma_f64 v[32:33], v[24:25], -0.5, v[44:45]
	v_fma_f64 v[38:39], v[26:27], -0.5, v[46:47]
	v_fma_f64 v[24:25], v[36:37], s[12:13], v[32:33]
	v_fma_f64 v[26:27], v[40:41], s[6:7], v[38:39]
	;; [unrolled: 1-line block ×12, first 2 shown]
	v_add_f64 v[32:33], v[62:63], v[60:61]
	v_add_f64 v[38:39], v[54:55], v[58:59]
	v_fma_f64 v[32:33], v[32:33], -0.5, v[44:45]
	v_fma_f64 v[38:39], v[38:39], -0.5, v[46:47]
	v_add_f64 v[44:45], v[44:45], v[56:57]
	v_add_f64 v[46:47], v[46:47], v[52:53]
	v_fma_f64 v[50:51], v[34:35], s[6:7], v[32:33]
	v_fma_f64 v[56:57], v[34:35], s[12:13], v[32:33]
	v_add_f64 v[44:45], v[44:45], v[62:63]
	v_add_f64 v[32:33], v[46:47], v[54:55]
	v_add_f64 v[46:47], v[66:67], -v[60:61]
	v_add_f64 v[34:35], v[44:45], v[60:61]
	v_add_f64 v[44:45], v[32:33], v[58:59]
	;; [unrolled: 1-line block ×4, first 2 shown]
	v_add_f64 v[44:45], v[52:53], -v[54:55]
	v_add_f64 v[52:53], v[64:65], -v[58:59]
	v_fma_f64 v[54:55], v[42:43], s[12:13], v[38:39]
	v_fma_f64 v[38:39], v[42:43], s[6:7], v[38:39]
	v_add_f64 v[42:43], v[48:49], v[46:47]
	v_fma_f64 v[46:47], v[36:37], s[0:1], v[50:51]
	v_fma_f64 v[48:49], v[36:37], s[4:5], v[56:57]
	v_add_f64 v[44:45], v[44:45], v[52:53]
	v_fma_f64 v[50:51], v[40:41], s[4:5], v[54:55]
	v_fma_f64 v[52:53], v[40:41], s[0:1], v[38:39]
	;; [unrolled: 1-line block ×6, first 2 shown]
	buffer_load_dword v44, off, s[48:51], 0 offset:648 ; 4-byte Folded Reload
	s_waitcnt vmcnt(0)
	ds_write_b128 v44, v[32:35]
	ds_write_b128 v44, v[36:39] offset:208
	ds_write_b128 v44, v[24:27] offset:416
	;; [unrolled: 1-line block ×4, first 2 shown]
	s_waitcnt lgkmcnt(0)
	s_barrier
	buffer_gl0_inv
	ds_read_b128 v[24:27], v174 offset:5200
	s_waitcnt lgkmcnt(0)
	v_mul_f64 v[28:29], v[150:151], v[26:27]
	v_fma_f64 v[36:37], v[148:149], v[24:25], v[28:29]
	v_mul_f64 v[24:25], v[150:151], v[24:25]
	v_fma_f64 v[38:39], v[148:149], v[26:27], -v[24:25]
	ds_read_b128 v[24:27], v174 offset:6240
	s_waitcnt lgkmcnt(0)
	v_mul_f64 v[28:29], v[150:151], v[26:27]
	v_fma_f64 v[56:57], v[148:149], v[24:25], v[28:29]
	v_mul_f64 v[24:25], v[150:151], v[24:25]
	v_fma_f64 v[58:59], v[148:149], v[26:27], -v[24:25]
	ds_read_b128 v[24:27], v174 offset:10400
	s_waitcnt lgkmcnt(0)
	v_mul_f64 v[28:29], v[146:147], v[26:27]
	v_fma_f64 v[40:41], v[144:145], v[24:25], v[28:29]
	v_mul_f64 v[24:25], v[146:147], v[24:25]
	v_fma_f64 v[44:45], v[144:145], v[26:27], -v[24:25]
	ds_read_b128 v[24:27], v174 offset:11440
	s_waitcnt lgkmcnt(0)
	v_mul_f64 v[28:29], v[146:147], v[26:27]
	v_fma_f64 v[60:61], v[144:145], v[24:25], v[28:29]
	v_mul_f64 v[24:25], v[146:147], v[24:25]
	v_fma_f64 v[62:63], v[144:145], v[26:27], -v[24:25]
	ds_read_b128 v[24:27], v174 offset:15600
	s_waitcnt lgkmcnt(0)
	v_mul_f64 v[28:29], v[142:143], v[26:27]
	v_fma_f64 v[42:43], v[140:141], v[24:25], v[28:29]
	v_mul_f64 v[24:25], v[142:143], v[24:25]
	v_add_f64 v[126:127], v[40:41], -v[42:43]
	v_fma_f64 v[46:47], v[140:141], v[26:27], -v[24:25]
	ds_read_b128 v[24:27], v174 offset:16640
	s_waitcnt lgkmcnt(0)
	v_mul_f64 v[28:29], v[142:143], v[26:27]
	v_add_f64 v[74:75], v[44:45], -v[46:47]
	v_fma_f64 v[64:65], v[140:141], v[24:25], v[28:29]
	v_mul_f64 v[24:25], v[142:143], v[24:25]
	v_add_f64 v[132:133], v[60:61], -v[64:65]
	v_fma_f64 v[68:69], v[140:141], v[26:27], -v[24:25]
	ds_read_b128 v[24:27], v174 offset:20800
	s_waitcnt lgkmcnt(0)
	v_mul_f64 v[28:29], v[138:139], v[26:27]
	v_fma_f64 v[48:49], v[136:137], v[24:25], v[28:29]
	v_mul_f64 v[24:25], v[138:139], v[24:25]
	v_add_f64 v[124:125], v[36:37], -v[48:49]
	v_fma_f64 v[50:51], v[136:137], v[26:27], -v[24:25]
	ds_read_b128 v[24:27], v174 offset:21840
	s_waitcnt lgkmcnt(0)
	v_mul_f64 v[28:29], v[138:139], v[26:27]
	v_add_f64 v[72:73], v[38:39], -v[50:51]
	v_fma_f64 v[66:67], v[136:137], v[24:25], v[28:29]
	v_mul_f64 v[24:25], v[138:139], v[24:25]
	v_fma_f64 v[70:71], v[136:137], v[26:27], -v[24:25]
	ds_read_b128 v[24:27], v174 offset:7280
	s_clause 0x3
	buffer_load_dword v30, off, s[48:51], 0 offset:712
	buffer_load_dword v31, off, s[48:51], 0 offset:716
	buffer_load_dword v32, off, s[48:51], 0 offset:720
	buffer_load_dword v33, off, s[48:51], 0 offset:724
	s_waitcnt vmcnt(0) lgkmcnt(0)
	v_mul_f64 v[28:29], v[32:33], v[26:27]
	v_fma_f64 v[76:77], v[30:31], v[24:25], v[28:29]
	v_mul_f64 v[24:25], v[32:33], v[24:25]
	v_fma_f64 v[80:81], v[30:31], v[26:27], -v[24:25]
	ds_read_b128 v[24:27], v174 offset:12480
	s_clause 0x3
	buffer_load_dword v30, off, s[48:51], 0 offset:696
	buffer_load_dword v31, off, s[48:51], 0 offset:700
	buffer_load_dword v32, off, s[48:51], 0 offset:704
	buffer_load_dword v33, off, s[48:51], 0 offset:708
	s_waitcnt vmcnt(0) lgkmcnt(0)
	v_mul_f64 v[28:29], v[32:33], v[26:27]
	;; [unrolled: 11-line block ×4, first 2 shown]
	v_fma_f64 v[120:121], v[30:31], v[24:25], v[28:29]
	v_mul_f64 v[24:25], v[32:33], v[24:25]
	v_add_f64 v[136:137], v[76:77], -v[120:121]
	v_fma_f64 v[122:123], v[30:31], v[26:27], -v[24:25]
	ds_read_b128 v[24:27], v174 offset:8320
	s_clause 0x3
	buffer_load_dword v30, off, s[48:51], 0 offset:776
	buffer_load_dword v31, off, s[48:51], 0 offset:780
	buffer_load_dword v32, off, s[48:51], 0 offset:784
	buffer_load_dword v33, off, s[48:51], 0 offset:788
	s_waitcnt vmcnt(0) lgkmcnt(0)
	v_mul_f64 v[28:29], v[32:33], v[26:27]
	v_fma_f64 v[108:109], v[30:31], v[24:25], v[28:29]
	v_mul_f64 v[24:25], v[32:33], v[24:25]
	v_fma_f64 v[104:105], v[30:31], v[26:27], -v[24:25]
	ds_read_b128 v[24:27], v174 offset:13520
	s_clause 0x3
	buffer_load_dword v30, off, s[48:51], 0 offset:760
	buffer_load_dword v31, off, s[48:51], 0 offset:764
	buffer_load_dword v32, off, s[48:51], 0 offset:768
	buffer_load_dword v33, off, s[48:51], 0 offset:772
	s_waitcnt vmcnt(0) lgkmcnt(0)
	v_mul_f64 v[28:29], v[32:33], v[26:27]
	v_fma_f64 v[112:113], v[30:31], v[24:25], v[28:29]
	v_mul_f64 v[24:25], v[32:33], v[24:25]
	;; [unrolled: 11-line block ×8, first 2 shown]
	v_add_f64 v[28:29], v[50:51], -v[46:47]
	ds_read_b128 v[32:35], v174
	v_fma_f64 v[100:101], v[30:31], v[26:27], -v[24:25]
	v_add_f64 v[24:25], v[36:37], -v[40:41]
	v_add_f64 v[26:27], v[48:49], -v[42:43]
	v_add_f64 v[24:25], v[24:25], v[26:27]
	v_add_f64 v[26:27], v[38:39], -v[44:45]
	v_add_f64 v[26:27], v[26:27], v[28:29]
	v_add_f64 v[28:29], v[40:41], v[42:43]
	s_waitcnt lgkmcnt(0)
	v_fma_f64 v[52:53], v[28:29], -0.5, v[32:33]
	v_add_f64 v[28:29], v[44:45], v[46:47]
	v_fma_f64 v[54:55], v[28:29], -0.5, v[34:35]
	v_fma_f64 v[28:29], v[72:73], s[6:7], v[52:53]
	v_fma_f64 v[52:53], v[72:73], s[12:13], v[52:53]
	;; [unrolled: 1-line block ×10, first 2 shown]
	v_add_f64 v[52:53], v[36:37], v[48:49]
	v_fma_f64 v[30:31], v[26:27], s[14:15], v[30:31]
	v_fma_f64 v[26:27], v[26:27], s[14:15], v[54:55]
	v_add_f64 v[54:55], v[38:39], v[50:51]
	v_fma_f64 v[52:53], v[52:53], -0.5, v[32:33]
	v_add_f64 v[32:33], v[32:33], v[36:37]
	v_add_f64 v[36:37], v[40:41], -v[36:37]
	v_fma_f64 v[54:55], v[54:55], -0.5, v[34:35]
	v_add_f64 v[34:35], v[34:35], v[38:39]
	v_fma_f64 v[130:131], v[74:75], s[12:13], v[52:53]
	v_add_f64 v[32:33], v[32:33], v[40:41]
	v_fma_f64 v[52:53], v[74:75], s[6:7], v[52:53]
	v_add_f64 v[74:75], v[42:43], -v[48:49]
	v_add_f64 v[34:35], v[34:35], v[44:45]
	v_add_f64 v[32:33], v[32:33], v[42:43]
	;; [unrolled: 1-line block ×3, first 2 shown]
	v_add_f64 v[74:75], v[58:59], -v[70:71]
	v_add_f64 v[34:35], v[34:35], v[46:47]
	v_add_f64 v[40:41], v[32:33], v[48:49]
	v_add_f64 v[32:33], v[44:45], -v[38:39]
	v_fma_f64 v[38:39], v[126:127], s[6:7], v[54:55]
	v_fma_f64 v[44:45], v[126:127], s[12:13], v[54:55]
	v_fma_f64 v[48:49], v[72:73], s[4:5], v[52:53]
	ds_read_b128 v[52:55], v174 offset:1040
	v_add_f64 v[42:43], v[34:35], v[50:51]
	v_add_f64 v[34:35], v[46:47], -v[50:51]
	v_fma_f64 v[46:47], v[72:73], s[0:1], v[130:131]
	v_add_f64 v[50:51], v[62:63], v[68:69]
	v_add_f64 v[130:131], v[56:57], -v[66:67]
	v_add_f64 v[32:33], v[32:33], v[34:35]
	v_fma_f64 v[34:35], v[124:125], s[4:5], v[38:39]
	v_fma_f64 v[38:39], v[124:125], s[0:1], v[44:45]
	;; [unrolled: 1-line block ×4, first 2 shown]
	v_add_f64 v[48:49], v[70:71], -v[68:69]
	s_waitcnt lgkmcnt(0)
	v_fma_f64 v[126:127], v[50:51], -0.5, v[54:55]
	v_add_f64 v[124:125], v[62:63], -v[68:69]
	v_fma_f64 v[46:47], v[32:33], s[14:15], v[34:35]
	v_fma_f64 v[38:39], v[32:33], s[14:15], v[38:39]
	v_add_f64 v[32:33], v[56:57], -v[60:61]
	v_add_f64 v[34:35], v[66:67], -v[64:65]
	v_fma_f64 v[50:51], v[130:131], s[12:13], v[126:127]
	v_fma_f64 v[126:127], v[130:131], s[6:7], v[126:127]
	v_add_f64 v[32:33], v[32:33], v[34:35]
	v_add_f64 v[34:35], v[58:59], -v[62:63]
	v_fma_f64 v[50:51], v[132:133], s[4:5], v[50:51]
	v_fma_f64 v[126:127], v[132:133], s[0:1], v[126:127]
	v_add_f64 v[34:35], v[34:35], v[48:49]
	v_add_f64 v[48:49], v[60:61], v[64:65]
	v_fma_f64 v[50:51], v[34:35], s[14:15], v[50:51]
	v_fma_f64 v[72:73], v[48:49], -0.5, v[52:53]
	v_fma_f64 v[34:35], v[34:35], s[14:15], v[126:127]
	v_add_f64 v[126:127], v[58:59], v[70:71]
	v_fma_f64 v[48:49], v[74:75], s[6:7], v[72:73]
	v_fma_f64 v[72:73], v[74:75], s[12:13], v[72:73]
	v_fma_f64 v[126:127], v[126:127], -0.5, v[54:55]
	v_add_f64 v[54:55], v[54:55], v[58:59]
	v_add_f64 v[58:59], v[62:63], -v[58:59]
	v_fma_f64 v[48:49], v[124:125], s[0:1], v[48:49]
	v_fma_f64 v[72:73], v[124:125], s[4:5], v[72:73]
	v_add_f64 v[54:55], v[54:55], v[62:63]
	v_fma_f64 v[62:63], v[132:133], s[12:13], v[126:127]
	v_fma_f64 v[48:49], v[32:33], s[14:15], v[48:49]
	;; [unrolled: 1-line block ×3, first 2 shown]
	v_add_f64 v[72:73], v[56:57], v[66:67]
	v_add_f64 v[54:55], v[54:55], v[68:69]
	v_fma_f64 v[72:73], v[72:73], -0.5, v[52:53]
	v_add_f64 v[52:53], v[52:53], v[56:57]
	v_add_f64 v[56:57], v[60:61], -v[56:57]
	v_fma_f64 v[134:135], v[124:125], s[12:13], v[72:73]
	v_add_f64 v[52:53], v[52:53], v[60:61]
	v_fma_f64 v[72:73], v[124:125], s[6:7], v[72:73]
	v_add_f64 v[60:61], v[64:65], -v[66:67]
	v_add_f64 v[52:53], v[52:53], v[64:65]
	v_fma_f64 v[72:73], v[74:75], s[4:5], v[72:73]
	v_add_f64 v[56:57], v[56:57], v[60:61]
	v_fma_f64 v[60:61], v[74:75], s[0:1], v[134:135]
	v_add_f64 v[134:135], v[78:79], -v[84:85]
	v_add_f64 v[64:65], v[52:53], v[66:67]
	v_add_f64 v[66:67], v[54:55], v[70:71]
	v_add_f64 v[52:53], v[68:69], -v[70:71]
	v_fma_f64 v[54:55], v[132:133], s[6:7], v[126:127]
	v_fma_f64 v[68:69], v[56:57], s[14:15], v[60:61]
	v_add_f64 v[132:133], v[80:81], -v[122:123]
	v_add_f64 v[58:59], v[58:59], v[52:53]
	v_fma_f64 v[52:53], v[130:131], s[4:5], v[54:55]
	v_fma_f64 v[54:55], v[130:131], s[0:1], v[62:63]
	v_add_f64 v[130:131], v[82:83], -v[86:87]
	v_fma_f64 v[70:71], v[58:59], s[14:15], v[52:53]
	v_fma_f64 v[52:53], v[56:57], s[14:15], v[72:73]
	;; [unrolled: 1-line block ×3, first 2 shown]
	v_add_f64 v[56:57], v[78:79], -v[76:77]
	v_add_f64 v[58:59], v[84:85], -v[120:121]
	ds_read_b128 v[72:75], v174 offset:2080
	v_add_f64 v[60:61], v[56:57], v[58:59]
	v_add_f64 v[56:57], v[82:83], -v[80:81]
	v_add_f64 v[58:59], v[86:87], -v[122:123]
	v_add_f64 v[62:63], v[56:57], v[58:59]
	v_add_f64 v[56:57], v[76:77], v[120:121]
	s_waitcnt lgkmcnt(0)
	v_fma_f64 v[124:125], v[56:57], -0.5, v[72:73]
	v_add_f64 v[56:57], v[80:81], v[122:123]
	v_fma_f64 v[126:127], v[56:57], -0.5, v[74:75]
	v_fma_f64 v[56:57], v[130:131], s[12:13], v[124:125]
	v_fma_f64 v[124:125], v[130:131], s[6:7], v[124:125]
	;; [unrolled: 1-line block ×10, first 2 shown]
	v_add_f64 v[124:125], v[78:79], v[84:85]
	v_fma_f64 v[58:59], v[62:63], s[14:15], v[58:59]
	v_fma_f64 v[62:63], v[62:63], s[14:15], v[126:127]
	v_add_f64 v[126:127], v[82:83], v[86:87]
	v_fma_f64 v[124:125], v[124:125], -0.5, v[72:73]
	v_add_f64 v[72:73], v[72:73], v[76:77]
	v_fma_f64 v[126:127], v[126:127], -0.5, v[74:75]
	v_add_f64 v[74:75], v[74:75], v[80:81]
	v_fma_f64 v[138:139], v[132:133], s[6:7], v[124:125]
	v_add_f64 v[72:73], v[72:73], v[78:79]
	v_fma_f64 v[124:125], v[132:133], s[12:13], v[124:125]
	v_add_f64 v[132:133], v[76:77], -v[78:79]
	v_add_f64 v[74:75], v[74:75], v[82:83]
	v_add_f64 v[72:73], v[72:73], v[84:85]
	v_add_f64 v[84:85], v[120:121], -v[84:85]
	v_add_f64 v[74:75], v[74:75], v[86:87]
	v_add_f64 v[76:77], v[72:73], v[120:121]
	v_add_f64 v[72:73], v[80:81], -v[82:83]
	v_fma_f64 v[80:81], v[136:137], s[12:13], v[126:127]
	v_fma_f64 v[82:83], v[136:137], s[6:7], v[126:127]
	v_add_f64 v[84:85], v[132:133], v[84:85]
	v_fma_f64 v[120:121], v[130:131], s[4:5], v[124:125]
	v_add_f64 v[78:79], v[74:75], v[122:123]
	v_add_f64 v[74:75], v[122:123], -v[86:87]
	v_fma_f64 v[86:87], v[130:131], s[0:1], v[138:139]
	v_fma_f64 v[122:123], v[134:135], s[0:1], v[82:83]
	v_add_f64 v[74:75], v[72:73], v[74:75]
	v_fma_f64 v[72:73], v[134:135], s[4:5], v[80:81]
	v_fma_f64 v[80:81], v[84:85], s[14:15], v[86:87]
	;; [unrolled: 1-line block ×5, first 2 shown]
	ds_read_b128 v[84:87], v174 offset:4160
	ds_read_b128 v[120:123], v174 offset:3120
	s_waitcnt lgkmcnt(0)
	s_barrier
	buffer_gl0_inv
	ds_write_b128 v174, v[40:43]
	ds_write_b128 v174, v[28:31] offset:1040
	ds_write_b128 v174, v[44:47] offset:2080
	;; [unrolled: 1-line block ×9, first 2 shown]
	buffer_load_dword v24, off, s[48:51], 0 offset:864 ; 4-byte Folded Reload
	v_add_f64 v[26:27], v[114:115], -v[118:119]
	v_add_f64 v[36:37], v[106:107], -v[110:111]
	;; [unrolled: 1-line block ×8, first 2 shown]
	s_waitcnt vmcnt(0)
	ds_write_b128 v24, v[76:79] offset:10400
	ds_write_b128 v24, v[80:83] offset:11440
	;; [unrolled: 1-line block ×5, first 2 shown]
	v_add_f64 v[24:25], v[112:113], -v[108:109]
	v_add_f64 v[46:47], v[122:123], v[104:105]
	v_add_f64 v[28:29], v[24:25], v[26:27]
	v_add_f64 v[24:25], v[106:107], -v[104:105]
	v_add_f64 v[26:27], v[110:111], -v[116:117]
	v_add_f64 v[30:31], v[24:25], v[26:27]
	v_add_f64 v[24:25], v[108:109], v[118:119]
	v_fma_f64 v[32:33], v[24:25], -0.5, v[120:121]
	v_add_f64 v[24:25], v[104:105], v[116:117]
	v_fma_f64 v[34:35], v[24:25], -0.5, v[122:123]
	v_fma_f64 v[24:25], v[36:37], s[12:13], v[32:33]
	v_fma_f64 v[32:33], v[36:37], s[6:7], v[32:33]
	;; [unrolled: 1-line block ×10, first 2 shown]
	v_add_f64 v[32:33], v[112:113], v[114:115]
	v_fma_f64 v[26:27], v[30:31], s[14:15], v[26:27]
	v_fma_f64 v[30:31], v[30:31], s[14:15], v[34:35]
	v_add_f64 v[34:35], v[106:107], v[110:111]
	v_fma_f64 v[32:33], v[32:33], -0.5, v[120:121]
	v_fma_f64 v[44:45], v[34:35], -0.5, v[122:123]
	v_add_f64 v[34:35], v[120:121], v[108:109]
	v_fma_f64 v[48:49], v[38:39], s[6:7], v[32:33]
	v_fma_f64 v[38:39], v[38:39], s[12:13], v[32:33]
	;; [unrolled: 1-line block ×3, first 2 shown]
	v_add_f64 v[32:33], v[34:35], v[112:113]
	v_add_f64 v[34:35], v[46:47], v[106:107]
	v_add_f64 v[46:47], v[118:119], -v[114:115]
	v_fma_f64 v[42:43], v[42:43], s[6:7], v[44:45]
	v_add_f64 v[32:33], v[32:33], v[114:115]
	v_add_f64 v[34:35], v[34:35], v[110:111]
	v_add_f64 v[44:45], v[50:51], v[46:47]
	v_fma_f64 v[46:47], v[36:37], s[0:1], v[48:49]
	v_fma_f64 v[48:49], v[36:37], s[4:5], v[38:39]
	;; [unrolled: 1-line block ×4, first 2 shown]
	v_add_f64 v[50:51], v[52:53], v[54:55]
	v_add_f64 v[52:53], v[88:89], -v[90:91]
	v_add_f64 v[54:55], v[100:101], -v[94:95]
	v_add_f64 v[32:33], v[32:33], v[118:119]
	v_add_f64 v[34:35], v[34:35], v[116:117]
	v_fma_f64 v[36:37], v[44:45], s[14:15], v[46:47]
	v_fma_f64 v[40:41], v[44:45], s[14:15], v[48:49]
	buffer_load_dword v44, off, s[48:51], 0 offset:860 ; 4-byte Folded Reload
	v_add_f64 v[46:47], v[86:87], v[88:89]
	v_fma_f64 v[38:39], v[50:51], s[14:15], v[38:39]
	v_fma_f64 v[42:43], v[50:51], s[14:15], v[42:43]
	v_add_f64 v[50:51], v[92:93], -v[96:97]
	s_waitcnt vmcnt(0)
	ds_write_b128 v44, v[32:35] offset:15600
	ds_write_b128 v44, v[36:39] offset:16640
	;; [unrolled: 1-line block ×5, first 2 shown]
	v_add_f64 v[24:25], v[96:97], -v[92:93]
	v_add_f64 v[26:27], v[98:99], -v[102:103]
	;; [unrolled: 1-line block ×6, first 2 shown]
	v_add_f64 v[28:29], v[24:25], v[26:27]
	v_add_f64 v[24:25], v[90:91], -v[88:89]
	v_add_f64 v[26:27], v[94:95], -v[100:101]
	v_add_f64 v[30:31], v[24:25], v[26:27]
	v_add_f64 v[24:25], v[92:93], v[102:103]
	v_fma_f64 v[32:33], v[24:25], -0.5, v[84:85]
	v_add_f64 v[24:25], v[88:89], v[100:101]
	v_fma_f64 v[34:35], v[24:25], -0.5, v[86:87]
	v_fma_f64 v[24:25], v[36:37], s[12:13], v[32:33]
	v_fma_f64 v[32:33], v[36:37], s[6:7], v[32:33]
	;; [unrolled: 1-line block ×10, first 2 shown]
	v_add_f64 v[32:33], v[96:97], v[98:99]
	v_fma_f64 v[26:27], v[30:31], s[14:15], v[26:27]
	v_fma_f64 v[30:31], v[30:31], s[14:15], v[34:35]
	v_add_f64 v[34:35], v[90:91], v[94:95]
	v_fma_f64 v[32:33], v[32:33], -0.5, v[84:85]
	v_fma_f64 v[44:45], v[34:35], -0.5, v[86:87]
	v_add_f64 v[34:35], v[84:85], v[92:93]
	v_fma_f64 v[48:49], v[38:39], s[6:7], v[32:33]
	v_fma_f64 v[38:39], v[38:39], s[12:13], v[32:33]
	;; [unrolled: 1-line block ×3, first 2 shown]
	v_add_f64 v[32:33], v[34:35], v[96:97]
	v_add_f64 v[34:35], v[46:47], v[90:91]
	v_add_f64 v[46:47], v[102:103], -v[98:99]
	v_fma_f64 v[42:43], v[42:43], s[6:7], v[44:45]
	v_add_f64 v[32:33], v[32:33], v[98:99]
	v_add_f64 v[34:35], v[34:35], v[94:95]
	;; [unrolled: 1-line block ×3, first 2 shown]
	v_fma_f64 v[46:47], v[36:37], s[0:1], v[48:49]
	v_fma_f64 v[48:49], v[36:37], s[4:5], v[38:39]
	;; [unrolled: 1-line block ×4, first 2 shown]
	v_add_f64 v[50:51], v[52:53], v[54:55]
	v_add_f64 v[32:33], v[32:33], v[102:103]
	;; [unrolled: 1-line block ×3, first 2 shown]
	v_fma_f64 v[36:37], v[44:45], s[14:15], v[46:47]
	v_fma_f64 v[40:41], v[44:45], s[14:15], v[48:49]
	buffer_load_dword v44, off, s[48:51], 0 offset:792 ; 4-byte Folded Reload
	v_fma_f64 v[38:39], v[50:51], s[14:15], v[38:39]
	v_fma_f64 v[42:43], v[50:51], s[14:15], v[42:43]
	s_waitcnt vmcnt(0)
	ds_write_b128 v44, v[32:35] offset:20800
	ds_write_b128 v44, v[36:39] offset:21840
	;; [unrolled: 1-line block ×5, first 2 shown]
	s_waitcnt lgkmcnt(0)
	s_barrier
	buffer_gl0_inv
	ds_read_b128 v[24:27], v174 offset:5200
	s_waitcnt lgkmcnt(0)
	v_mul_f64 v[28:29], v[210:211], v[26:27]
	v_fma_f64 v[28:29], v[208:209], v[24:25], v[28:29]
	v_mul_f64 v[24:25], v[210:211], v[24:25]
	v_fma_f64 v[30:31], v[208:209], v[26:27], -v[24:25]
	ds_read_b128 v[24:27], v174 offset:10400
	s_waitcnt lgkmcnt(0)
	v_mul_f64 v[32:33], v[214:215], v[26:27]
	v_fma_f64 v[32:33], v[212:213], v[24:25], v[32:33]
	v_mul_f64 v[24:25], v[214:215], v[24:25]
	v_fma_f64 v[34:35], v[212:213], v[26:27], -v[24:25]
	ds_read_b128 v[24:27], v174 offset:15600
	s_waitcnt lgkmcnt(0)
	v_mul_f64 v[36:37], v[206:207], v[26:27]
	v_fma_f64 v[36:37], v[204:205], v[24:25], v[36:37]
	v_mul_f64 v[24:25], v[206:207], v[24:25]
	v_fma_f64 v[38:39], v[204:205], v[26:27], -v[24:25]
	ds_read_b128 v[24:27], v174 offset:20800
	s_clause 0x3
	buffer_load_dword v42, off, s[48:51], 0 offset:868
	buffer_load_dword v43, off, s[48:51], 0 offset:872
	;; [unrolled: 1-line block ×4, first 2 shown]
	s_waitcnt vmcnt(0) lgkmcnt(0)
	v_mul_f64 v[40:41], v[44:45], v[26:27]
	v_fma_f64 v[40:41], v[42:43], v[24:25], v[40:41]
	v_mul_f64 v[24:25], v[44:45], v[24:25]
	v_fma_f64 v[42:43], v[42:43], v[26:27], -v[24:25]
	ds_read_b128 v[24:27], v174 offset:6240
	s_waitcnt lgkmcnt(0)
	v_mul_f64 v[44:45], v[226:227], v[26:27]
	v_fma_f64 v[44:45], v[224:225], v[24:25], v[44:45]
	v_mul_f64 v[24:25], v[226:227], v[24:25]
	v_fma_f64 v[46:47], v[224:225], v[26:27], -v[24:25]
	ds_read_b128 v[24:27], v174 offset:11440
	s_waitcnt lgkmcnt(0)
	v_mul_f64 v[48:49], v[230:231], v[26:27]
	v_fma_f64 v[48:49], v[228:229], v[24:25], v[48:49]
	v_mul_f64 v[24:25], v[230:231], v[24:25]
	v_fma_f64 v[50:51], v[228:229], v[26:27], -v[24:25]
	ds_read_b128 v[24:27], v174 offset:16640
	s_waitcnt lgkmcnt(0)
	v_mul_f64 v[52:53], v[222:223], v[26:27]
	v_fma_f64 v[52:53], v[220:221], v[24:25], v[52:53]
	v_mul_f64 v[24:25], v[222:223], v[24:25]
	v_fma_f64 v[54:55], v[220:221], v[26:27], -v[24:25]
	ds_read_b128 v[24:27], v174 offset:21840
	s_waitcnt lgkmcnt(0)
	v_mul_f64 v[56:57], v[218:219], v[26:27]
	v_fma_f64 v[56:57], v[216:217], v[24:25], v[56:57]
	v_mul_f64 v[24:25], v[218:219], v[24:25]
	v_fma_f64 v[58:59], v[216:217], v[26:27], -v[24:25]
	ds_read_b128 v[24:27], v174 offset:7280
	s_waitcnt lgkmcnt(0)
	v_mul_f64 v[60:61], v[246:247], v[26:27]
	v_fma_f64 v[60:61], v[244:245], v[24:25], v[60:61]
	v_mul_f64 v[24:25], v[246:247], v[24:25]
	v_fma_f64 v[62:63], v[244:245], v[26:27], -v[24:25]
	ds_read_b128 v[24:27], v174 offset:12480
	s_waitcnt lgkmcnt(0)
	v_mul_f64 v[64:65], v[242:243], v[26:27]
	v_fma_f64 v[64:65], v[240:241], v[24:25], v[64:65]
	v_mul_f64 v[24:25], v[242:243], v[24:25]
	v_fma_f64 v[66:67], v[240:241], v[26:27], -v[24:25]
	ds_read_b128 v[24:27], v174 offset:17680
	s_waitcnt lgkmcnt(0)
	v_mul_f64 v[68:69], v[238:239], v[26:27]
	v_fma_f64 v[68:69], v[236:237], v[24:25], v[68:69]
	v_mul_f64 v[24:25], v[238:239], v[24:25]
	v_add_f64 v[112:113], v[64:65], -v[68:69]
	v_fma_f64 v[70:71], v[236:237], v[26:27], -v[24:25]
	ds_read_b128 v[24:27], v174 offset:22880
	s_waitcnt lgkmcnt(0)
	v_mul_f64 v[72:73], v[234:235], v[26:27]
	v_fma_f64 v[72:73], v[232:233], v[24:25], v[72:73]
	v_mul_f64 v[24:25], v[234:235], v[24:25]
	v_add_f64 v[110:111], v[60:61], -v[72:73]
	v_fma_f64 v[74:75], v[232:233], v[26:27], -v[24:25]
	ds_read_b128 v[24:27], v174 offset:8320
	s_waitcnt lgkmcnt(0)
	v_mul_f64 v[76:77], v[2:3], v[26:27]
	v_mul_f64 v[2:3], v[2:3], v[24:25]
	v_fma_f64 v[76:77], v[0:1], v[24:25], v[76:77]
	v_fma_f64 v[78:79], v[0:1], v[26:27], -v[2:3]
	ds_read_b128 v[0:3], v174 offset:13520
	v_add_f64 v[26:27], v[32:33], -v[28:29]
	s_waitcnt lgkmcnt(0)
	v_mul_f64 v[24:25], v[6:7], v[2:3]
	v_fma_f64 v[96:97], v[4:5], v[0:1], v[24:25]
	v_mul_f64 v[0:1], v[6:7], v[0:1]
	v_add_f64 v[24:25], v[32:33], -v[36:37]
	v_fma_f64 v[98:99], v[4:5], v[2:3], -v[0:1]
	ds_read_b128 v[0:3], v174 offset:18720
	s_waitcnt lgkmcnt(0)
	v_mul_f64 v[4:5], v[254:255], v[2:3]
	v_fma_f64 v[100:101], v[252:253], v[0:1], v[4:5]
	v_mul_f64 v[0:1], v[254:255], v[0:1]
	v_add_f64 v[114:115], v[96:97], -v[100:101]
	v_fma_f64 v[102:103], v[252:253], v[2:3], -v[0:1]
	ds_read_b128 v[0:3], v174 offset:23920
	s_waitcnt lgkmcnt(0)
	v_mul_f64 v[4:5], v[250:251], v[2:3]
	v_fma_f64 v[104:105], v[248:249], v[0:1], v[4:5]
	v_mul_f64 v[0:1], v[250:251], v[0:1]
	v_fma_f64 v[106:107], v[248:249], v[2:3], -v[0:1]
	ds_read_b128 v[0:3], v174 offset:9360
	s_waitcnt lgkmcnt(0)
	v_mul_f64 v[4:5], v[22:23], v[2:3]
	v_fma_f64 v[82:83], v[20:21], v[0:1], v[4:5]
	v_mul_f64 v[0:1], v[22:23], v[0:1]
	v_add_f64 v[22:23], v[28:29], -v[40:41]
	v_fma_f64 v[80:81], v[20:21], v[2:3], -v[0:1]
	ds_read_b128 v[0:3], v174 offset:14560
	v_add_f64 v[20:21], v[30:31], -v[42:43]
	s_waitcnt lgkmcnt(0)
	v_mul_f64 v[4:5], v[18:19], v[2:3]
	v_fma_f64 v[90:91], v[16:17], v[0:1], v[4:5]
	v_mul_f64 v[0:1], v[18:19], v[0:1]
	v_fma_f64 v[86:87], v[16:17], v[2:3], -v[0:1]
	ds_read_b128 v[0:3], v174 offset:19760
	v_add_f64 v[16:17], v[34:35], -v[38:39]
	s_waitcnt lgkmcnt(0)
	v_mul_f64 v[4:5], v[14:15], v[2:3]
	v_fma_f64 v[88:89], v[12:13], v[0:1], v[4:5]
	v_mul_f64 v[0:1], v[14:15], v[0:1]
	v_add_f64 v[118:119], v[90:91], -v[88:89]
	v_fma_f64 v[84:85], v[12:13], v[2:3], -v[0:1]
	ds_read_b128 v[0:3], v174 offset:24960
	s_waitcnt lgkmcnt(0)
	v_mul_f64 v[4:5], v[10:11], v[2:3]
	v_fma_f64 v[92:93], v[8:9], v[0:1], v[4:5]
	v_mul_f64 v[0:1], v[10:11], v[0:1]
	v_add_f64 v[4:5], v[42:43], -v[38:39]
	v_fma_f64 v[94:95], v[8:9], v[2:3], -v[0:1]
	v_add_f64 v[0:1], v[28:29], -v[32:33]
	v_add_f64 v[2:3], v[40:41], -v[36:37]
	ds_read_b128 v[8:11], v174
	v_add_f64 v[0:1], v[0:1], v[2:3]
	v_add_f64 v[2:3], v[30:31], -v[34:35]
	v_add_f64 v[2:3], v[2:3], v[4:5]
	v_add_f64 v[4:5], v[32:33], v[36:37]
	s_waitcnt lgkmcnt(0)
	v_fma_f64 v[12:13], v[4:5], -0.5, v[8:9]
	v_add_f64 v[4:5], v[34:35], v[38:39]
	v_fma_f64 v[14:15], v[4:5], -0.5, v[10:11]
	v_fma_f64 v[4:5], v[20:21], s[6:7], v[12:13]
	v_fma_f64 v[12:13], v[20:21], s[12:13], v[12:13]
	;; [unrolled: 1-line block ×10, first 2 shown]
	v_add_f64 v[12:13], v[28:29], v[40:41]
	v_fma_f64 v[6:7], v[2:3], s[14:15], v[6:7]
	v_fma_f64 v[2:3], v[2:3], s[14:15], v[14:15]
	v_add_f64 v[14:15], v[30:31], v[42:43]
	v_fma_f64 v[12:13], v[12:13], -0.5, v[8:9]
	v_add_f64 v[8:9], v[8:9], v[28:29]
	v_fma_f64 v[14:15], v[14:15], -0.5, v[10:11]
	v_add_f64 v[10:11], v[10:11], v[30:31]
	v_fma_f64 v[28:29], v[16:17], s[12:13], v[12:13]
	v_add_f64 v[8:9], v[8:9], v[32:33]
	v_fma_f64 v[12:13], v[16:17], s[6:7], v[12:13]
	v_add_f64 v[30:31], v[34:35], -v[30:31]
	v_add_f64 v[32:33], v[36:37], -v[40:41]
	v_add_f64 v[10:11], v[10:11], v[34:35]
	v_add_f64 v[34:35], v[46:47], -v[58:59]
	v_add_f64 v[8:9], v[8:9], v[36:37]
	v_fma_f64 v[12:13], v[20:21], s[4:5], v[12:13]
	v_add_f64 v[36:37], v[50:51], -v[54:55]
	v_add_f64 v[10:11], v[10:11], v[38:39]
	v_add_f64 v[16:17], v[8:9], v[40:41]
	v_add_f64 v[8:9], v[38:39], -v[42:43]
	v_add_f64 v[40:41], v[44:45], -v[56:57]
	v_add_f64 v[18:19], v[10:11], v[42:43]
	v_fma_f64 v[10:11], v[24:25], s[6:7], v[14:15]
	v_fma_f64 v[14:15], v[24:25], s[12:13], v[14:15]
	v_add_f64 v[8:9], v[30:31], v[8:9]
	v_add_f64 v[24:25], v[26:27], v[32:33]
	v_fma_f64 v[26:27], v[20:21], s[0:1], v[28:29]
	ds_read_b128 v[28:31], v174 offset:1040
	v_add_f64 v[42:43], v[48:49], -v[52:53]
	v_fma_f64 v[10:11], v[22:23], s[4:5], v[10:11]
	v_fma_f64 v[14:15], v[22:23], s[0:1], v[14:15]
	;; [unrolled: 1-line block ×4, first 2 shown]
	v_add_f64 v[24:25], v[58:59], -v[54:55]
	v_add_f64 v[26:27], v[50:51], v[54:55]
	v_fma_f64 v[22:23], v[8:9], s[14:15], v[10:11]
	v_fma_f64 v[14:15], v[8:9], s[14:15], v[14:15]
	v_add_f64 v[8:9], v[44:45], -v[48:49]
	v_add_f64 v[10:11], v[56:57], -v[52:53]
	s_waitcnt lgkmcnt(0)
	v_fma_f64 v[38:39], v[26:27], -0.5, v[30:31]
	v_add_f64 v[8:9], v[8:9], v[10:11]
	v_add_f64 v[10:11], v[46:47], -v[50:51]
	v_fma_f64 v[26:27], v[40:41], s[12:13], v[38:39]
	v_fma_f64 v[38:39], v[40:41], s[6:7], v[38:39]
	v_add_f64 v[10:11], v[10:11], v[24:25]
	v_add_f64 v[24:25], v[48:49], v[52:53]
	v_fma_f64 v[26:27], v[42:43], s[4:5], v[26:27]
	v_fma_f64 v[38:39], v[42:43], s[0:1], v[38:39]
	v_fma_f64 v[32:33], v[24:25], -0.5, v[28:29]
	v_fma_f64 v[26:27], v[10:11], s[14:15], v[26:27]
	v_fma_f64 v[10:11], v[10:11], s[14:15], v[38:39]
	v_add_f64 v[38:39], v[46:47], v[58:59]
	v_fma_f64 v[24:25], v[34:35], s[6:7], v[32:33]
	v_fma_f64 v[32:33], v[34:35], s[12:13], v[32:33]
	v_fma_f64 v[108:109], v[38:39], -0.5, v[30:31]
	v_add_f64 v[30:31], v[30:31], v[46:47]
	v_add_f64 v[46:47], v[50:51], -v[46:47]
	v_fma_f64 v[24:25], v[36:37], s[0:1], v[24:25]
	v_fma_f64 v[32:33], v[36:37], s[4:5], v[32:33]
	v_add_f64 v[30:31], v[30:31], v[50:51]
	v_add_f64 v[50:51], v[52:53], -v[56:57]
	v_fma_f64 v[24:25], v[8:9], s[14:15], v[24:25]
	v_fma_f64 v[8:9], v[8:9], s[14:15], v[32:33]
	v_add_f64 v[32:33], v[44:45], v[56:57]
	v_add_f64 v[30:31], v[30:31], v[54:55]
	v_fma_f64 v[32:33], v[32:33], -0.5, v[28:29]
	v_add_f64 v[28:29], v[28:29], v[44:45]
	v_add_f64 v[44:45], v[48:49], -v[44:45]
	v_add_f64 v[38:39], v[30:31], v[58:59]
	v_fma_f64 v[30:31], v[42:43], s[6:7], v[108:109]
	v_fma_f64 v[42:43], v[42:43], s[12:13], v[108:109]
	v_add_f64 v[108:109], v[62:63], -v[74:75]
	v_add_f64 v[28:29], v[28:29], v[48:49]
	v_fma_f64 v[48:49], v[36:37], s[12:13], v[32:33]
	v_fma_f64 v[32:33], v[36:37], s[6:7], v[32:33]
	;; [unrolled: 1-line block ×3, first 2 shown]
	v_add_f64 v[44:45], v[44:45], v[50:51]
	v_add_f64 v[28:29], v[28:29], v[52:53]
	v_fma_f64 v[48:49], v[34:35], s[0:1], v[48:49]
	v_fma_f64 v[32:33], v[34:35], s[4:5], v[32:33]
	;; [unrolled: 1-line block ×3, first 2 shown]
	v_add_f64 v[36:37], v[28:29], v[56:57]
	v_add_f64 v[28:29], v[54:55], -v[58:59]
	v_fma_f64 v[40:41], v[44:45], s[14:15], v[48:49]
	v_fma_f64 v[32:33], v[44:45], s[14:15], v[32:33]
	v_add_f64 v[44:45], v[74:75], -v[70:71]
	ds_read_b128 v[48:51], v174 offset:2080
	v_add_f64 v[56:57], v[66:67], -v[70:71]
	v_add_f64 v[28:29], v[46:47], v[28:29]
	v_fma_f64 v[42:43], v[28:29], s[14:15], v[30:31]
	v_fma_f64 v[34:35], v[28:29], s[14:15], v[34:35]
	v_add_f64 v[28:29], v[60:61], -v[64:65]
	v_add_f64 v[30:31], v[72:73], -v[68:69]
	v_add_f64 v[28:29], v[28:29], v[30:31]
	v_add_f64 v[30:31], v[62:63], -v[66:67]
	v_add_f64 v[30:31], v[30:31], v[44:45]
	v_add_f64 v[44:45], v[64:65], v[68:69]
	s_waitcnt lgkmcnt(0)
	v_fma_f64 v[52:53], v[44:45], -0.5, v[48:49]
	v_add_f64 v[44:45], v[66:67], v[70:71]
	v_fma_f64 v[54:55], v[44:45], -0.5, v[50:51]
	v_fma_f64 v[44:45], v[108:109], s[6:7], v[52:53]
	v_fma_f64 v[52:53], v[108:109], s[12:13], v[52:53]
	;; [unrolled: 1-line block ×10, first 2 shown]
	v_add_f64 v[52:53], v[60:61], v[72:73]
	v_fma_f64 v[46:47], v[30:31], s[14:15], v[46:47]
	v_fma_f64 v[30:31], v[30:31], s[14:15], v[54:55]
	v_add_f64 v[54:55], v[62:63], v[74:75]
	v_fma_f64 v[52:53], v[52:53], -0.5, v[48:49]
	v_add_f64 v[48:49], v[48:49], v[60:61]
	v_add_f64 v[60:61], v[64:65], -v[60:61]
	v_fma_f64 v[54:55], v[54:55], -0.5, v[50:51]
	v_add_f64 v[50:51], v[50:51], v[62:63]
	v_add_f64 v[62:63], v[66:67], -v[62:63]
	v_add_f64 v[48:49], v[48:49], v[64:65]
	v_fma_f64 v[64:65], v[56:57], s[12:13], v[52:53]
	v_fma_f64 v[52:53], v[56:57], s[6:7], v[52:53]
	v_add_f64 v[50:51], v[50:51], v[66:67]
	v_add_f64 v[66:67], v[68:69], -v[72:73]
	v_add_f64 v[48:49], v[48:49], v[68:69]
	v_fma_f64 v[52:53], v[108:109], s[4:5], v[52:53]
	v_add_f64 v[50:51], v[50:51], v[70:71]
	v_add_f64 v[66:67], v[60:61], v[66:67]
	;; [unrolled: 1-line block ×3, first 2 shown]
	v_add_f64 v[48:49], v[70:71], -v[74:75]
	v_fma_f64 v[60:61], v[108:109], s[0:1], v[64:65]
	v_add_f64 v[64:65], v[106:107], -v[102:103]
	ds_read_b128 v[68:71], v174 offset:3120
	v_add_f64 v[108:109], v[78:79], -v[106:107]
	v_add_f64 v[58:59], v[50:51], v[74:75]
	v_fma_f64 v[50:51], v[112:113], s[6:7], v[54:55]
	v_fma_f64 v[54:55], v[112:113], s[12:13], v[54:55]
	v_add_f64 v[48:49], v[62:63], v[48:49]
	v_add_f64 v[112:113], v[76:77], -v[104:105]
	v_fma_f64 v[60:61], v[66:67], s[14:15], v[60:61]
	v_fma_f64 v[52:53], v[66:67], s[14:15], v[52:53]
	;; [unrolled: 1-line block ×4, first 2 shown]
	v_add_f64 v[110:111], v[98:99], -v[102:103]
	v_fma_f64 v[62:63], v[48:49], s[14:15], v[50:51]
	v_fma_f64 v[54:55], v[48:49], s[14:15], v[54:55]
	v_add_f64 v[48:49], v[76:77], -v[96:97]
	v_add_f64 v[50:51], v[104:105], -v[100:101]
	v_add_f64 v[48:49], v[48:49], v[50:51]
	v_add_f64 v[50:51], v[78:79], -v[98:99]
	v_add_f64 v[50:51], v[50:51], v[64:65]
	v_add_f64 v[64:65], v[96:97], v[100:101]
	s_waitcnt lgkmcnt(0)
	v_fma_f64 v[72:73], v[64:65], -0.5, v[68:69]
	v_add_f64 v[64:65], v[98:99], v[102:103]
	v_fma_f64 v[74:75], v[64:65], -0.5, v[70:71]
	v_fma_f64 v[64:65], v[108:109], s[6:7], v[72:73]
	v_fma_f64 v[72:73], v[108:109], s[12:13], v[72:73]
	;; [unrolled: 1-line block ×10, first 2 shown]
	v_add_f64 v[72:73], v[76:77], v[104:105]
	v_fma_f64 v[66:67], v[50:51], s[14:15], v[66:67]
	v_fma_f64 v[50:51], v[50:51], s[14:15], v[74:75]
	v_add_f64 v[74:75], v[78:79], v[106:107]
	v_fma_f64 v[72:73], v[72:73], -0.5, v[68:69]
	v_add_f64 v[68:69], v[68:69], v[76:77]
	v_add_f64 v[76:77], v[96:97], -v[76:77]
	v_fma_f64 v[116:117], v[74:75], -0.5, v[70:71]
	v_add_f64 v[70:71], v[70:71], v[78:79]
	v_add_f64 v[78:79], v[98:99], -v[78:79]
	v_add_f64 v[68:69], v[68:69], v[96:97]
	v_fma_f64 v[96:97], v[110:111], s[12:13], v[72:73]
	v_fma_f64 v[110:111], v[110:111], s[6:7], v[72:73]
	v_add_f64 v[70:71], v[70:71], v[98:99]
	v_add_f64 v[98:99], v[100:101], -v[104:105]
	v_add_f64 v[68:69], v[68:69], v[100:101]
	v_fma_f64 v[100:101], v[114:115], s[12:13], v[116:117]
	v_add_f64 v[70:71], v[70:71], v[102:103]
	v_add_f64 v[98:99], v[76:77], v[98:99]
	;; [unrolled: 1-line block ×3, first 2 shown]
	v_add_f64 v[68:69], v[102:103], -v[106:107]
	v_fma_f64 v[76:77], v[108:109], s[0:1], v[96:97]
	v_fma_f64 v[96:97], v[108:109], s[4:5], v[110:111]
	v_add_f64 v[74:75], v[70:71], v[106:107]
	v_fma_f64 v[70:71], v[114:115], s[6:7], v[116:117]
	v_add_f64 v[106:107], v[86:87], v[84:85]
	v_add_f64 v[102:103], v[78:79], v[68:69]
	v_fma_f64 v[76:77], v[98:99], s[14:15], v[76:77]
	v_add_f64 v[116:117], v[82:83], -v[92:93]
	v_add_f64 v[114:115], v[86:87], -v[84:85]
	v_fma_f64 v[68:69], v[112:113], s[4:5], v[70:71]
	v_fma_f64 v[70:71], v[112:113], s[0:1], v[100:101]
	v_add_f64 v[100:101], v[94:95], -v[84:85]
	v_add_f64 v[112:113], v[80:81], -v[94:95]
	v_fma_f64 v[78:79], v[102:103], s[14:15], v[68:69]
	;; [unrolled: 4-line block ×3, first 2 shown]
	ds_read_b128 v[102:105], v174 offset:4160
	ds_write_b128 v174, v[16:19]
	ds_write_b128 v172, v[4:7] offset:5200
	ds_write_b128 v172, v[20:23] offset:10400
	;; [unrolled: 1-line block ×15, first 2 shown]
	v_add_nc_u32_e32 v0, 0xc30, v174
	v_add_f64 v[96:97], v[96:97], v[98:99]
	v_add_f64 v[98:99], v[80:81], -v[86:87]
	s_waitcnt lgkmcnt(16)
	v_fma_f64 v[110:111], v[106:107], -0.5, v[104:105]
	v_add_f64 v[98:99], v[98:99], v[100:101]
	v_add_f64 v[100:101], v[90:91], v[88:89]
	v_fma_f64 v[108:109], v[116:117], s[12:13], v[110:111]
	v_fma_f64 v[110:111], v[116:117], s[6:7], v[110:111]
	v_fma_f64 v[100:101], v[100:101], -0.5, v[102:103]
	v_fma_f64 v[108:109], v[118:119], s[4:5], v[108:109]
	v_fma_f64 v[110:111], v[118:119], s[0:1], v[110:111]
	;; [unrolled: 1-line block ×6, first 2 shown]
	v_add_f64 v[110:111], v[80:81], v[94:95]
	v_fma_f64 v[106:107], v[114:115], s[0:1], v[106:107]
	v_fma_f64 v[100:101], v[114:115], s[4:5], v[100:101]
	v_fma_f64 v[110:111], v[110:111], -0.5, v[104:105]
	v_add_f64 v[104:105], v[104:105], v[80:81]
	v_fma_f64 v[106:107], v[96:97], s[14:15], v[106:107]
	v_fma_f64 v[96:97], v[96:97], s[14:15], v[100:101]
	v_add_f64 v[100:101], v[82:83], v[92:93]
	v_fma_f64 v[100:101], v[100:101], -0.5, v[102:103]
	v_add_f64 v[102:103], v[102:103], v[82:83]
	v_fma_f64 v[120:121], v[114:115], s[12:13], v[100:101]
	v_add_f64 v[102:103], v[102:103], v[90:91]
	v_add_f64 v[90:91], v[90:91], -v[82:83]
	v_add_f64 v[82:83], v[104:105], v[86:87]
	v_add_f64 v[86:87], v[86:87], -v[80:81]
	v_fma_f64 v[100:101], v[114:115], s[6:7], v[100:101]
	v_add_f64 v[80:81], v[102:103], v[88:89]
	v_add_f64 v[88:89], v[88:89], -v[92:93]
	v_add_f64 v[82:83], v[82:83], v[84:85]
	v_add_f64 v[84:85], v[84:85], -v[94:95]
	v_fma_f64 v[100:101], v[112:113], s[4:5], v[100:101]
	v_add_f64 v[80:81], v[80:81], v[92:93]
	v_fma_f64 v[92:93], v[118:119], s[6:7], v[110:111]
	v_add_f64 v[82:83], v[82:83], v[94:95]
	;; [unrolled: 2-line block ×4, first 2 shown]
	ds_write_b128 v0, v[64:67] offset:5200
	ds_write_b128 v0, v[76:79] offset:10400
	ds_write_b128 v0, v[68:71] offset:15600
	ds_write_b128 v0, v[48:51] offset:20800
	ds_write_b128 v172, v[80:83] offset:4160
	v_add_nc_u32_e32 v0, 0x1040, v174
	v_fma_f64 v[86:87], v[116:117], s[4:5], v[92:93]
	s_mov_b32 s4, 0x6615bd85
	v_fma_f64 v[92:93], v[116:117], s[0:1], v[94:95]
	s_mov_b32 s5, 0x3f442a38
	v_fma_f64 v[84:85], v[88:89], s[14:15], v[90:91]
	v_fma_f64 v[88:89], v[88:89], s[14:15], v[100:101]
	s_mul_hi_u32 s1, s8, 0x7d
	v_fma_f64 v[86:87], v[102:103], s[14:15], v[86:87]
	v_fma_f64 v[90:91], v[102:103], s[14:15], v[92:93]
	ds_write_b128 v0, v[106:109] offset:5200
	ds_write_b128 v0, v[84:87] offset:10400
	;; [unrolled: 1-line block ×4, first 2 shown]
	s_waitcnt lgkmcnt(0)
	s_barrier
	buffer_gl0_inv
	ds_read_b128 v[0:3], v174
	ds_read_b128 v[4:7], v174 offset:2000
	ds_read_b128 v[8:11], v174 offset:4000
	s_clause 0x5
	buffer_load_dword v34, off, s[48:51], 0 offset:116
	buffer_load_dword v35, off, s[48:51], 0 offset:120
	;; [unrolled: 1-line block ×6, first 2 shown]
	s_waitcnt vmcnt(2) lgkmcnt(2)
	v_mul_f64 v[16:17], v[36:37], v[2:3]
	v_mul_f64 v[18:19], v[36:37], v[0:1]
	s_clause 0x3
	buffer_load_dword v36, off, s[48:51], 0 offset:132
	buffer_load_dword v37, off, s[48:51], 0 offset:136
	;; [unrolled: 1-line block ×4, first 2 shown]
	s_waitcnt vmcnt(5)
	v_mov_b32_e32 v30, v12
	s_waitcnt vmcnt(4)
	ds_read_b128 v[12:15], v174 offset:6000
	v_mad_u64_u32 v[20:21], null, s10, v30, 0
	v_fma_f64 v[16:17], v[34:35], v[0:1], v[16:17]
	v_fma_f64 v[18:19], v[34:35], v[2:3], -v[18:19]
	s_waitcnt vmcnt(0) lgkmcnt(2)
	v_mul_f64 v[22:23], v[38:39], v[6:7]
	v_mul_f64 v[24:25], v[38:39], v[4:5]
	s_clause 0x4
	buffer_load_dword v38, off, s[48:51], 0 offset:308
	buffer_load_dword v39, off, s[48:51], 0 offset:312
	;; [unrolled: 1-line block ×5, first 2 shown]
	ds_read_b128 v[0:3], v174 offset:8000
	s_clause 0x3
	buffer_load_dword v45, off, s[48:51], 0 offset:292
	buffer_load_dword v46, off, s[48:51], 0 offset:296
	;; [unrolled: 1-line block ×4, first 2 shown]
	v_mad_u64_u32 v[30:31], null, s11, v30, v[21:22]
	v_fma_f64 v[22:23], v[36:37], v[4:5], v[22:23]
	v_fma_f64 v[24:25], v[36:37], v[6:7], -v[24:25]
	v_mul_f64 v[4:5], v[16:17], s[4:5]
	v_mul_f64 v[6:7], v[18:19], s[4:5]
	v_mov_b32_e32 v21, v30
	v_lshlrev_b64 v[20:21], 4, v[20:21]
	v_mul_f64 v[16:17], v[22:23], s[4:5]
	v_mul_f64 v[18:19], v[24:25], s[4:5]
	s_waitcnt vmcnt(5) lgkmcnt(2)
	v_mul_f64 v[26:27], v[40:41], v[10:11]
	v_mul_f64 v[28:29], v[40:41], v[8:9]
	s_waitcnt vmcnt(4)
	v_mad_u64_u32 v[31:32], null, s8, v33, 0
	s_waitcnt vmcnt(0) lgkmcnt(1)
	v_mul_f64 v[35:36], v[47:48], v[12:13]
	v_mov_b32_e32 v30, v32
	v_mad_u64_u32 v[32:33], null, s9, v33, v[30:31]
	v_mul_f64 v[33:34], v[47:48], v[14:15]
	v_fma_f64 v[26:27], v[38:39], v[8:9], v[26:27]
	v_fma_f64 v[28:29], v[38:39], v[10:11], -v[28:29]
	ds_read_b128 v[8:11], v174 offset:10000
	s_clause 0x3
	buffer_load_dword v41, off, s[48:51], 0 offset:276
	buffer_load_dword v42, off, s[48:51], 0 offset:280
	;; [unrolled: 1-line block ×4, first 2 shown]
	v_add_co_u32 v39, s0, s2, v20
	v_lshlrev_b64 v[30:31], 4, v[31:32]
	v_add_co_ci_u32_e64 v40, s0, s3, v21, s0
	s_mul_i32 s0, s9, 0x7d
	s_mul_i32 s2, s8, 0x7d
	s_add_i32 s3, s1, s0
	v_add_co_u32 v30, s0, v39, v30
	v_add_co_ci_u32_e64 v31, s0, v40, v31, s0
	s_lshl_b64 s[2:3], s[2:3], 4
	v_add_co_u32 v32, s0, v30, s2
	v_mul_f64 v[20:21], v[26:27], s[4:5]
	v_mul_f64 v[22:23], v[28:29], s[4:5]
	v_fma_f64 v[26:27], v[45:46], v[12:13], v[33:34]
	v_fma_f64 v[28:29], v[45:46], v[14:15], -v[35:36]
	ds_read_b128 v[12:15], v174 offset:12000
	s_clause 0x3
	buffer_load_dword v52, off, s[48:51], 0 offset:212
	buffer_load_dword v53, off, s[48:51], 0 offset:216
	;; [unrolled: 1-line block ×4, first 2 shown]
	v_add_co_ci_u32_e64 v33, s0, s3, v31, s0
	v_add_co_u32 v36, s0, v32, s2
	global_store_dwordx4 v[30:31], v[4:7], off
	v_mul_f64 v[4:5], v[26:27], s[4:5]
	v_mul_f64 v[6:7], v[28:29], s[4:5]
	s_waitcnt vmcnt(4) lgkmcnt(2)
	v_mul_f64 v[37:38], v[43:44], v[2:3]
	v_mul_f64 v[24:25], v[43:44], v[0:1]
	v_fma_f64 v[34:35], v[41:42], v[0:1], v[37:38]
	v_add_co_ci_u32_e64 v37, s0, s3, v33, s0
	v_add_co_u32 v50, s0, v36, s2
	v_fma_f64 v[40:41], v[41:42], v[2:3], -v[24:25]
	ds_read_b128 v[0:3], v174 offset:14000
	global_store_dwordx4 v[32:33], v[16:19], off
	global_store_dwordx4 v[36:37], v[20:23], off
	s_clause 0x3
	buffer_load_dword v56, off, s[48:51], 0 offset:196
	buffer_load_dword v57, off, s[48:51], 0 offset:200
	;; [unrolled: 1-line block ×4, first 2 shown]
	ds_read_b128 v[16:19], v174 offset:16000
	ds_read_b128 v[20:23], v174 offset:18000
	;; [unrolled: 1-line block ×3, first 2 shown]
	v_add_co_ci_u32_e64 v51, s0, s3, v37, s0
	ds_read_b128 v[28:31], v174 offset:22000
	ds_read_b128 v[36:39], v174 offset:24000
	s_clause 0x3
	buffer_load_dword v76, off, s[48:51], 0 offset:180
	buffer_load_dword v77, off, s[48:51], 0 offset:184
	;; [unrolled: 1-line block ×4, first 2 shown]
	s_waitcnt vmcnt(8) lgkmcnt(7)
	v_mul_f64 v[42:43], v[54:55], v[10:11]
	v_mul_f64 v[44:45], v[54:55], v[8:9]
	s_clause 0x7
	buffer_load_dword v72, off, s[48:51], 0 offset:164
	buffer_load_dword v73, off, s[48:51], 0 offset:168
	buffer_load_dword v74, off, s[48:51], 0 offset:172
	buffer_load_dword v75, off, s[48:51], 0 offset:176
	buffer_load_dword v68, off, s[48:51], 0 offset:148
	buffer_load_dword v69, off, s[48:51], 0 offset:152
	buffer_load_dword v70, off, s[48:51], 0 offset:156
	buffer_load_dword v71, off, s[48:51], 0 offset:160
	v_mul_f64 v[32:33], v[34:35], s[4:5]
	v_mul_f64 v[34:35], v[40:41], s[4:5]
	v_fma_f64 v[8:9], v[52:53], v[8:9], v[42:43]
	v_fma_f64 v[10:11], v[52:53], v[10:11], -v[44:45]
	v_add_co_u32 v44, s0, v50, s2
	v_add_co_ci_u32_e64 v45, s0, s3, v51, s0
	s_waitcnt vmcnt(12) lgkmcnt(6)
	v_mul_f64 v[46:47], v[58:59], v[14:15]
	v_mul_f64 v[48:49], v[58:59], v[12:13]
	s_waitcnt vmcnt(8) lgkmcnt(5)
	v_mul_f64 v[40:41], v[78:79], v[2:3]
	v_mul_f64 v[42:43], v[78:79], v[0:1]
	s_clause 0x3
	buffer_load_dword v78, off, s[48:51], 0 offset:228
	buffer_load_dword v79, off, s[48:51], 0 offset:232
	;; [unrolled: 1-line block ×4, first 2 shown]
	s_waitcnt vmcnt(8) lgkmcnt(4)
	v_mul_f64 v[52:53], v[74:75], v[18:19]
	v_mul_f64 v[54:55], v[74:75], v[16:17]
	v_fma_f64 v[12:13], v[56:57], v[12:13], v[46:47]
	v_fma_f64 v[14:15], v[56:57], v[14:15], -v[48:49]
	s_waitcnt vmcnt(4) lgkmcnt(3)
	v_mul_f64 v[46:47], v[70:71], v[22:23]
	v_mul_f64 v[48:49], v[70:71], v[20:21]
	v_fma_f64 v[16:17], v[72:73], v[16:17], v[52:53]
	v_fma_f64 v[18:19], v[72:73], v[18:19], -v[54:55]
	v_fma_f64 v[20:21], v[68:69], v[20:21], v[46:47]
	v_fma_f64 v[22:23], v[68:69], v[22:23], -v[48:49]
	s_waitcnt vmcnt(0) lgkmcnt(2)
	v_mul_f64 v[56:57], v[80:81], v[26:27]
	v_mul_f64 v[58:59], v[80:81], v[24:25]
	s_clause 0x3
	buffer_load_dword v80, off, s[48:51], 0 offset:244
	buffer_load_dword v81, off, s[48:51], 0 offset:248
	buffer_load_dword v82, off, s[48:51], 0 offset:252
	buffer_load_dword v83, off, s[48:51], 0 offset:256
	v_fma_f64 v[24:25], v[78:79], v[24:25], v[56:57]
	v_fma_f64 v[26:27], v[78:79], v[26:27], -v[58:59]
	s_waitcnt vmcnt(0) lgkmcnt(1)
	v_mul_f64 v[60:61], v[82:83], v[30:31]
	v_mul_f64 v[62:63], v[82:83], v[28:29]
	s_clause 0x3
	buffer_load_dword v82, off, s[48:51], 0 offset:260
	buffer_load_dword v83, off, s[48:51], 0 offset:264
	;; [unrolled: 1-line block ×4, first 2 shown]
	global_store_dwordx4 v[50:51], v[4:7], off
	global_store_dwordx4 v[44:45], v[32:35], off
	v_mul_f64 v[4:5], v[8:9], s[4:5]
	v_mul_f64 v[6:7], v[10:11], s[4:5]
	v_fma_f64 v[8:9], v[76:77], v[0:1], v[40:41]
	v_fma_f64 v[10:11], v[76:77], v[2:3], -v[42:43]
	v_add_co_u32 v32, s0, v44, s2
	v_add_co_ci_u32_e64 v33, s0, s3, v45, s0
	v_mul_f64 v[0:1], v[12:13], s[4:5]
	v_mul_f64 v[2:3], v[14:15], s[4:5]
	;; [unrolled: 1-line block ×8, first 2 shown]
	v_fma_f64 v[28:29], v[80:81], v[28:29], v[60:61]
	v_fma_f64 v[30:31], v[80:81], v[30:31], -v[62:63]
	global_store_dwordx4 v[32:33], v[4:7], off
	v_mul_f64 v[8:9], v[8:9], s[4:5]
	v_mul_f64 v[10:11], v[10:11], s[4:5]
	;; [unrolled: 1-line block ×4, first 2 shown]
	s_waitcnt vmcnt(0) lgkmcnt(0)
	v_mul_f64 v[64:65], v[84:85], v[38:39]
	v_mul_f64 v[66:67], v[84:85], v[36:37]
	v_fma_f64 v[34:35], v[82:83], v[36:37], v[64:65]
	v_fma_f64 v[36:37], v[82:83], v[38:39], -v[66:67]
	v_add_co_u32 v38, s0, v32, s2
	v_add_co_ci_u32_e64 v39, s0, s3, v33, s0
	v_add_co_u32 v40, s0, v38, s2
	v_add_co_ci_u32_e64 v41, s0, s3, v39, s0
	global_store_dwordx4 v[38:39], v[0:3], off
	v_add_co_u32 v42, s0, v40, s2
	v_add_co_ci_u32_e64 v43, s0, s3, v41, s0
	global_store_dwordx4 v[40:41], v[8:11], off
	v_mul_f64 v[28:29], v[34:35], s[4:5]
	v_add_co_u32 v34, s0, v42, s2
	v_add_co_ci_u32_e64 v35, s0, s3, v43, s0
	v_mul_f64 v[30:31], v[36:37], s[4:5]
	v_add_co_u32 v4, s0, v34, s2
	v_add_co_ci_u32_e64 v5, s0, s3, v35, s0
	v_add_co_u32 v2, s0, v4, s2
	v_add_co_ci_u32_e64 v3, s0, s3, v5, s0
	;; [unrolled: 2-line block ×3, first 2 shown]
	global_store_dwordx4 v[42:43], v[12:15], off
	global_store_dwordx4 v[34:35], v[16:19], off
	;; [unrolled: 1-line block ×5, first 2 shown]
	s_and_b32 exec_lo, exec_lo, vcc_lo
	s_cbranch_execz .LBB0_15
; %bb.14:
	global_load_dwordx4 v[2:5], v[128:129], off offset:1040
	ds_read_b128 v[6:9], v172 offset:1040
	v_mad_u64_u32 v[12:13], null, 0xffffa650, s8, v[0:1]
	s_mul_i32 s0, s9, 0xffffa650
	s_sub_i32 s0, s0, s8
	v_add_nc_u32_e32 v13, s0, v13
	s_waitcnt vmcnt(0) lgkmcnt(0)
	v_mul_f64 v[10:11], v[8:9], v[4:5]
	v_mul_f64 v[4:5], v[6:7], v[4:5]
	v_fma_f64 v[6:7], v[6:7], v[2:3], v[10:11]
	v_fma_f64 v[4:5], v[2:3], v[8:9], -v[4:5]
	v_mul_f64 v[2:3], v[6:7], s[4:5]
	v_mul_f64 v[4:5], v[4:5], s[4:5]
	global_store_dwordx4 v[12:13], v[2:5], off
	s_clause 0x1
	buffer_load_dword v0, off, s[48:51], 0 offset:96
	buffer_load_dword v1, off, s[48:51], 0 offset:100
	s_waitcnt vmcnt(0)
	global_load_dwordx4 v[0:3], v[0:1], off offset:992
	ds_read_b128 v[4:7], v174 offset:3040
	ds_read_b128 v[8:11], v174 offset:5040
	s_waitcnt vmcnt(0) lgkmcnt(1)
	v_mul_f64 v[14:15], v[6:7], v[2:3]
	v_mul_f64 v[2:3], v[4:5], v[2:3]
	v_fma_f64 v[4:5], v[4:5], v[0:1], v[14:15]
	v_fma_f64 v[2:3], v[0:1], v[6:7], -v[2:3]
	v_mul_f64 v[0:1], v[4:5], s[4:5]
	v_mul_f64 v[2:3], v[2:3], s[4:5]
	v_add_co_u32 v4, vcc_lo, v12, s2
	v_add_co_ci_u32_e32 v5, vcc_lo, s3, v13, vcc_lo
	v_add_co_u32 v12, vcc_lo, v4, s2
	v_add_co_ci_u32_e32 v13, vcc_lo, s3, v5, vcc_lo
	global_store_dwordx4 v[4:5], v[0:3], off
	s_clause 0x1
	buffer_load_dword v0, off, s[48:51], 0 offset:80
	buffer_load_dword v1, off, s[48:51], 0 offset:84
	s_waitcnt vmcnt(0)
	global_load_dwordx4 v[0:3], v[0:1], off offset:944
	s_waitcnt vmcnt(0) lgkmcnt(0)
	v_mul_f64 v[6:7], v[10:11], v[2:3]
	v_mul_f64 v[2:3], v[8:9], v[2:3]
	v_fma_f64 v[6:7], v[8:9], v[0:1], v[6:7]
	v_fma_f64 v[2:3], v[0:1], v[10:11], -v[2:3]
	v_mul_f64 v[0:1], v[6:7], s[4:5]
	v_mul_f64 v[2:3], v[2:3], s[4:5]
	global_store_dwordx4 v[12:13], v[0:3], off
	s_clause 0x1
	buffer_load_dword v0, off, s[48:51], 0 offset:72
	buffer_load_dword v1, off, s[48:51], 0 offset:76
	s_waitcnt vmcnt(0)
	global_load_dwordx4 v[0:3], v[0:1], off offset:896
	ds_read_b128 v[4:7], v174 offset:7040
	ds_read_b128 v[8:11], v174 offset:9040
	s_waitcnt vmcnt(0) lgkmcnt(1)
	v_mul_f64 v[14:15], v[6:7], v[2:3]
	v_mul_f64 v[2:3], v[4:5], v[2:3]
	v_fma_f64 v[4:5], v[4:5], v[0:1], v[14:15]
	v_fma_f64 v[2:3], v[0:1], v[6:7], -v[2:3]
	v_mul_f64 v[0:1], v[4:5], s[4:5]
	v_mul_f64 v[2:3], v[2:3], s[4:5]
	v_add_co_u32 v4, vcc_lo, v12, s2
	v_add_co_ci_u32_e32 v5, vcc_lo, s3, v13, vcc_lo
	v_add_co_u32 v12, vcc_lo, v4, s2
	v_add_co_ci_u32_e32 v13, vcc_lo, s3, v5, vcc_lo
	global_store_dwordx4 v[4:5], v[0:3], off
	s_clause 0x1
	buffer_load_dword v0, off, s[48:51], 0 offset:56
	buffer_load_dword v1, off, s[48:51], 0 offset:60
	s_waitcnt vmcnt(0)
	global_load_dwordx4 v[0:3], v[0:1], off offset:848
	;; [unrolled: 32-line block ×5, first 2 shown]
	s_waitcnt vmcnt(0) lgkmcnt(0)
	v_mul_f64 v[6:7], v[10:11], v[2:3]
	v_mul_f64 v[2:3], v[8:9], v[2:3]
	v_fma_f64 v[6:7], v[8:9], v[0:1], v[6:7]
	v_fma_f64 v[2:3], v[0:1], v[10:11], -v[2:3]
	v_mul_f64 v[0:1], v[6:7], s[4:5]
	v_mul_f64 v[2:3], v[2:3], s[4:5]
	global_store_dwordx4 v[12:13], v[0:3], off
	s_clause 0x1
	buffer_load_dword v0, off, s[48:51], 0 offset:48
	buffer_load_dword v1, off, s[48:51], 0 offset:52
	s_waitcnt vmcnt(0)
	global_load_dwordx4 v[0:3], v[0:1], off offset:512
	ds_read_b128 v[4:7], v174 offset:23040
	ds_read_b128 v[8:11], v174 offset:25040
	s_waitcnt vmcnt(0) lgkmcnt(1)
	v_mul_f64 v[14:15], v[6:7], v[2:3]
	v_mul_f64 v[2:3], v[4:5], v[2:3]
	v_fma_f64 v[4:5], v[4:5], v[0:1], v[14:15]
	v_fma_f64 v[2:3], v[0:1], v[6:7], -v[2:3]
	v_mul_f64 v[0:1], v[4:5], s[4:5]
	v_mul_f64 v[2:3], v[2:3], s[4:5]
	v_add_co_u32 v4, vcc_lo, v12, s2
	v_add_co_ci_u32_e32 v5, vcc_lo, s3, v13, vcc_lo
	global_store_dwordx4 v[4:5], v[0:3], off
	s_clause 0x1
	buffer_load_dword v0, off, s[48:51], 0 offset:892
	buffer_load_dword v1, off, s[48:51], 0 offset:896
	v_add_co_u32 v4, vcc_lo, v4, s2
	v_add_co_ci_u32_e32 v5, vcc_lo, s3, v5, vcc_lo
	s_waitcnt vmcnt(0)
	global_load_dwordx4 v[0:3], v[0:1], off offset:464
	s_waitcnt vmcnt(0) lgkmcnt(0)
	v_mul_f64 v[6:7], v[10:11], v[2:3]
	v_mul_f64 v[2:3], v[8:9], v[2:3]
	v_fma_f64 v[6:7], v[8:9], v[0:1], v[6:7]
	v_fma_f64 v[2:3], v[0:1], v[10:11], -v[2:3]
	v_mul_f64 v[0:1], v[6:7], s[4:5]
	v_mul_f64 v[2:3], v[2:3], s[4:5]
	global_store_dwordx4 v[4:5], v[0:3], off
.LBB0_15:
	s_endpgm
	.section	.rodata,"a",@progbits
	.p2align	6, 0x0
	.amdhsa_kernel bluestein_single_back_len1625_dim1_dp_op_CI_CI
		.amdhsa_group_segment_fixed_size 52000
		.amdhsa_private_segment_fixed_size 904
		.amdhsa_kernarg_size 104
		.amdhsa_user_sgpr_count 6
		.amdhsa_user_sgpr_private_segment_buffer 1
		.amdhsa_user_sgpr_dispatch_ptr 0
		.amdhsa_user_sgpr_queue_ptr 0
		.amdhsa_user_sgpr_kernarg_segment_ptr 1
		.amdhsa_user_sgpr_dispatch_id 0
		.amdhsa_user_sgpr_flat_scratch_init 0
		.amdhsa_user_sgpr_private_segment_size 0
		.amdhsa_wavefront_size32 1
		.amdhsa_uses_dynamic_stack 0
		.amdhsa_system_sgpr_private_segment_wavefront_offset 1
		.amdhsa_system_sgpr_workgroup_id_x 1
		.amdhsa_system_sgpr_workgroup_id_y 0
		.amdhsa_system_sgpr_workgroup_id_z 0
		.amdhsa_system_sgpr_workgroup_info 0
		.amdhsa_system_vgpr_workitem_id 0
		.amdhsa_next_free_vgpr 256
		.amdhsa_next_free_sgpr 52
		.amdhsa_reserve_vcc 1
		.amdhsa_reserve_flat_scratch 0
		.amdhsa_float_round_mode_32 0
		.amdhsa_float_round_mode_16_64 0
		.amdhsa_float_denorm_mode_32 3
		.amdhsa_float_denorm_mode_16_64 3
		.amdhsa_dx10_clamp 1
		.amdhsa_ieee_mode 1
		.amdhsa_fp16_overflow 0
		.amdhsa_workgroup_processor_mode 1
		.amdhsa_memory_ordered 1
		.amdhsa_forward_progress 0
		.amdhsa_shared_vgpr_count 0
		.amdhsa_exception_fp_ieee_invalid_op 0
		.amdhsa_exception_fp_denorm_src 0
		.amdhsa_exception_fp_ieee_div_zero 0
		.amdhsa_exception_fp_ieee_overflow 0
		.amdhsa_exception_fp_ieee_underflow 0
		.amdhsa_exception_fp_ieee_inexact 0
		.amdhsa_exception_int_div_zero 0
	.end_amdhsa_kernel
	.text
.Lfunc_end0:
	.size	bluestein_single_back_len1625_dim1_dp_op_CI_CI, .Lfunc_end0-bluestein_single_back_len1625_dim1_dp_op_CI_CI
                                        ; -- End function
	.section	.AMDGPU.csdata,"",@progbits
; Kernel info:
; codeLenInByte = 47908
; NumSgprs: 54
; NumVgprs: 256
; ScratchSize: 904
; MemoryBound: 0
; FloatMode: 240
; IeeeMode: 1
; LDSByteSize: 52000 bytes/workgroup (compile time only)
; SGPRBlocks: 6
; VGPRBlocks: 31
; NumSGPRsForWavesPerEU: 54
; NumVGPRsForWavesPerEU: 256
; Occupancy: 3
; WaveLimiterHint : 1
; COMPUTE_PGM_RSRC2:SCRATCH_EN: 1
; COMPUTE_PGM_RSRC2:USER_SGPR: 6
; COMPUTE_PGM_RSRC2:TRAP_HANDLER: 0
; COMPUTE_PGM_RSRC2:TGID_X_EN: 1
; COMPUTE_PGM_RSRC2:TGID_Y_EN: 0
; COMPUTE_PGM_RSRC2:TGID_Z_EN: 0
; COMPUTE_PGM_RSRC2:TIDIG_COMP_CNT: 0
	.text
	.p2alignl 6, 3214868480
	.fill 48, 4, 3214868480
	.type	__hip_cuid_60a85ee11f9ac8cf,@object ; @__hip_cuid_60a85ee11f9ac8cf
	.section	.bss,"aw",@nobits
	.globl	__hip_cuid_60a85ee11f9ac8cf
__hip_cuid_60a85ee11f9ac8cf:
	.byte	0                               ; 0x0
	.size	__hip_cuid_60a85ee11f9ac8cf, 1

	.ident	"AMD clang version 19.0.0git (https://github.com/RadeonOpenCompute/llvm-project roc-6.4.0 25133 c7fe45cf4b819c5991fe208aaa96edf142730f1d)"
	.section	".note.GNU-stack","",@progbits
	.addrsig
	.addrsig_sym __hip_cuid_60a85ee11f9ac8cf
	.amdgpu_metadata
---
amdhsa.kernels:
  - .args:
      - .actual_access:  read_only
        .address_space:  global
        .offset:         0
        .size:           8
        .value_kind:     global_buffer
      - .actual_access:  read_only
        .address_space:  global
        .offset:         8
        .size:           8
        .value_kind:     global_buffer
      - .actual_access:  read_only
        .address_space:  global
        .offset:         16
        .size:           8
        .value_kind:     global_buffer
      - .actual_access:  read_only
        .address_space:  global
        .offset:         24
        .size:           8
        .value_kind:     global_buffer
      - .actual_access:  read_only
        .address_space:  global
        .offset:         32
        .size:           8
        .value_kind:     global_buffer
      - .offset:         40
        .size:           8
        .value_kind:     by_value
      - .address_space:  global
        .offset:         48
        .size:           8
        .value_kind:     global_buffer
      - .address_space:  global
        .offset:         56
        .size:           8
        .value_kind:     global_buffer
      - .address_space:  global
        .offset:         64
        .size:           8
        .value_kind:     global_buffer
      - .address_space:  global
        .offset:         72
        .size:           8
        .value_kind:     global_buffer
      - .offset:         80
        .size:           4
        .value_kind:     by_value
      - .address_space:  global
        .offset:         88
        .size:           8
        .value_kind:     global_buffer
      - .address_space:  global
        .offset:         96
        .size:           8
        .value_kind:     global_buffer
    .group_segment_fixed_size: 52000
    .kernarg_segment_align: 8
    .kernarg_segment_size: 104
    .language:       OpenCL C
    .language_version:
      - 2
      - 0
    .max_flat_workgroup_size: 130
    .name:           bluestein_single_back_len1625_dim1_dp_op_CI_CI
    .private_segment_fixed_size: 904
    .sgpr_count:     54
    .sgpr_spill_count: 0
    .symbol:         bluestein_single_back_len1625_dim1_dp_op_CI_CI.kd
    .uniform_work_group_size: 1
    .uses_dynamic_stack: false
    .vgpr_count:     256
    .vgpr_spill_count: 229
    .wavefront_size: 32
    .workgroup_processor_mode: 1
amdhsa.target:   amdgcn-amd-amdhsa--gfx1030
amdhsa.version:
  - 1
  - 2
...

	.end_amdgpu_metadata
